;; amdgpu-corpus repo=ROCm/rocFFT kind=compiled arch=gfx1201 opt=O3
	.text
	.amdgcn_target "amdgcn-amd-amdhsa--gfx1201"
	.amdhsa_code_object_version 6
	.protected	fft_rtc_fwd_len320_factors_10_4_4_2_wgs_64_tpt_16_halfLds_half_op_CI_CI_unitstride_sbrr_dirReg ; -- Begin function fft_rtc_fwd_len320_factors_10_4_4_2_wgs_64_tpt_16_halfLds_half_op_CI_CI_unitstride_sbrr_dirReg
	.globl	fft_rtc_fwd_len320_factors_10_4_4_2_wgs_64_tpt_16_halfLds_half_op_CI_CI_unitstride_sbrr_dirReg
	.p2align	8
	.type	fft_rtc_fwd_len320_factors_10_4_4_2_wgs_64_tpt_16_halfLds_half_op_CI_CI_unitstride_sbrr_dirReg,@function
fft_rtc_fwd_len320_factors_10_4_4_2_wgs_64_tpt_16_halfLds_half_op_CI_CI_unitstride_sbrr_dirReg: ; @fft_rtc_fwd_len320_factors_10_4_4_2_wgs_64_tpt_16_halfLds_half_op_CI_CI_unitstride_sbrr_dirReg
; %bb.0:
	s_clause 0x2
	s_load_b128 s[8:11], s[0:1], 0x0
	s_load_b128 s[4:7], s[0:1], 0x58
	;; [unrolled: 1-line block ×3, first 2 shown]
	v_lshrrev_b32_e32 v17, 4, v0
	v_mov_b32_e32 v3, 0
	v_mov_b32_e32 v19, 0
	;; [unrolled: 1-line block ×3, first 2 shown]
	s_delay_alu instid0(VALU_DEP_4) | instskip(NEXT) | instid1(VALU_DEP_4)
	v_lshl_or_b32 v7, ttmp9, 2, v17
	v_mov_b32_e32 v8, v3
	s_wait_kmcnt 0x0
	v_cmp_lt_u64_e64 s2, s[10:11], 2
	s_delay_alu instid0(VALU_DEP_1)
	s_and_b32 vcc_lo, exec_lo, s2
	s_cbranch_vccnz .LBB0_8
; %bb.1:
	s_load_b64 s[2:3], s[0:1], 0x10
	v_mov_b32_e32 v19, 0
	v_mov_b32_e32 v20, 0
	s_delay_alu instid0(VALU_DEP_2)
	v_mov_b32_e32 v1, v19
	s_add_nc_u64 s[16:17], s[14:15], 8
	s_add_nc_u64 s[18:19], s[12:13], 8
	s_mov_b64 s[20:21], 1
	v_mov_b32_e32 v2, v20
	s_wait_kmcnt 0x0
	s_add_nc_u64 s[22:23], s[2:3], 8
	s_mov_b32 s3, 0
.LBB0_2:                                ; =>This Inner Loop Header: Depth=1
	s_load_b64 s[24:25], s[22:23], 0x0
                                        ; implicit-def: $vgpr5_vgpr6
	s_mov_b32 s2, exec_lo
	s_wait_kmcnt 0x0
	v_or_b32_e32 v4, s25, v8
	s_delay_alu instid0(VALU_DEP_1)
	v_cmpx_ne_u64_e32 0, v[3:4]
	s_wait_alu 0xfffe
	s_xor_b32 s26, exec_lo, s2
	s_cbranch_execz .LBB0_4
; %bb.3:                                ;   in Loop: Header=BB0_2 Depth=1
	s_cvt_f32_u32 s2, s24
	s_cvt_f32_u32 s27, s25
	s_sub_nc_u64 s[30:31], 0, s[24:25]
	s_wait_alu 0xfffe
	s_delay_alu instid0(SALU_CYCLE_1) | instskip(SKIP_1) | instid1(SALU_CYCLE_2)
	s_fmamk_f32 s2, s27, 0x4f800000, s2
	s_wait_alu 0xfffe
	v_s_rcp_f32 s2, s2
	s_delay_alu instid0(TRANS32_DEP_1) | instskip(SKIP_1) | instid1(SALU_CYCLE_2)
	s_mul_f32 s2, s2, 0x5f7ffffc
	s_wait_alu 0xfffe
	s_mul_f32 s27, s2, 0x2f800000
	s_wait_alu 0xfffe
	s_delay_alu instid0(SALU_CYCLE_2) | instskip(SKIP_1) | instid1(SALU_CYCLE_2)
	s_trunc_f32 s27, s27
	s_wait_alu 0xfffe
	s_fmamk_f32 s2, s27, 0xcf800000, s2
	s_cvt_u32_f32 s29, s27
	s_wait_alu 0xfffe
	s_delay_alu instid0(SALU_CYCLE_1) | instskip(SKIP_1) | instid1(SALU_CYCLE_2)
	s_cvt_u32_f32 s28, s2
	s_wait_alu 0xfffe
	s_mul_u64 s[34:35], s[30:31], s[28:29]
	s_wait_alu 0xfffe
	s_mul_hi_u32 s37, s28, s35
	s_mul_i32 s36, s28, s35
	s_mul_hi_u32 s2, s28, s34
	s_mul_i32 s33, s29, s34
	s_wait_alu 0xfffe
	s_add_nc_u64 s[36:37], s[2:3], s[36:37]
	s_mul_hi_u32 s27, s29, s34
	s_mul_hi_u32 s38, s29, s35
	s_add_co_u32 s2, s36, s33
	s_wait_alu 0xfffe
	s_add_co_ci_u32 s2, s37, s27
	s_mul_i32 s34, s29, s35
	s_add_co_ci_u32 s35, s38, 0
	s_wait_alu 0xfffe
	s_add_nc_u64 s[34:35], s[2:3], s[34:35]
	s_wait_alu 0xfffe
	v_add_co_u32 v4, s2, s28, s34
	s_delay_alu instid0(VALU_DEP_1) | instskip(SKIP_1) | instid1(VALU_DEP_1)
	s_cmp_lg_u32 s2, 0
	s_add_co_ci_u32 s29, s29, s35
	v_readfirstlane_b32 s28, v4
	s_wait_alu 0xfffe
	s_delay_alu instid0(VALU_DEP_1)
	s_mul_u64 s[30:31], s[30:31], s[28:29]
	s_wait_alu 0xfffe
	s_mul_hi_u32 s35, s28, s31
	s_mul_i32 s34, s28, s31
	s_mul_hi_u32 s2, s28, s30
	s_mul_i32 s33, s29, s30
	s_wait_alu 0xfffe
	s_add_nc_u64 s[34:35], s[2:3], s[34:35]
	s_mul_hi_u32 s27, s29, s30
	s_mul_hi_u32 s28, s29, s31
	s_wait_alu 0xfffe
	s_add_co_u32 s2, s34, s33
	s_add_co_ci_u32 s2, s35, s27
	s_mul_i32 s30, s29, s31
	s_add_co_ci_u32 s31, s28, 0
	s_wait_alu 0xfffe
	s_add_nc_u64 s[30:31], s[2:3], s[30:31]
	s_wait_alu 0xfffe
	v_add_co_u32 v6, s2, v4, s30
	s_delay_alu instid0(VALU_DEP_1) | instskip(SKIP_1) | instid1(VALU_DEP_1)
	s_cmp_lg_u32 s2, 0
	s_add_co_ci_u32 s2, s29, s31
	v_mul_hi_u32 v13, v7, v6
	s_wait_alu 0xfffe
	v_mad_co_u64_u32 v[4:5], null, v7, s2, 0
	v_mad_co_u64_u32 v[9:10], null, v8, v6, 0
	;; [unrolled: 1-line block ×3, first 2 shown]
	s_delay_alu instid0(VALU_DEP_3) | instskip(SKIP_1) | instid1(VALU_DEP_4)
	v_add_co_u32 v4, vcc_lo, v13, v4
	s_wait_alu 0xfffd
	v_add_co_ci_u32_e32 v5, vcc_lo, 0, v5, vcc_lo
	s_delay_alu instid0(VALU_DEP_2) | instskip(SKIP_1) | instid1(VALU_DEP_2)
	v_add_co_u32 v4, vcc_lo, v4, v9
	s_wait_alu 0xfffd
	v_add_co_ci_u32_e32 v4, vcc_lo, v5, v10, vcc_lo
	s_wait_alu 0xfffd
	v_add_co_ci_u32_e32 v5, vcc_lo, 0, v12, vcc_lo
	s_delay_alu instid0(VALU_DEP_2) | instskip(SKIP_1) | instid1(VALU_DEP_2)
	v_add_co_u32 v9, vcc_lo, v4, v11
	s_wait_alu 0xfffd
	v_add_co_ci_u32_e32 v6, vcc_lo, 0, v5, vcc_lo
	s_delay_alu instid0(VALU_DEP_2) | instskip(SKIP_1) | instid1(VALU_DEP_3)
	v_mul_lo_u32 v10, s25, v9
	v_mad_co_u64_u32 v[4:5], null, s24, v9, 0
	v_mul_lo_u32 v11, s24, v6
	s_delay_alu instid0(VALU_DEP_2) | instskip(NEXT) | instid1(VALU_DEP_2)
	v_sub_co_u32 v4, vcc_lo, v7, v4
	v_add3_u32 v5, v5, v11, v10
	s_delay_alu instid0(VALU_DEP_1) | instskip(SKIP_1) | instid1(VALU_DEP_1)
	v_sub_nc_u32_e32 v10, v8, v5
	s_wait_alu 0xfffd
	v_subrev_co_ci_u32_e64 v10, s2, s25, v10, vcc_lo
	v_add_co_u32 v11, s2, v9, 2
	s_wait_alu 0xf1ff
	v_add_co_ci_u32_e64 v12, s2, 0, v6, s2
	v_sub_co_u32 v13, s2, v4, s24
	v_sub_co_ci_u32_e32 v5, vcc_lo, v8, v5, vcc_lo
	s_wait_alu 0xf1ff
	v_subrev_co_ci_u32_e64 v10, s2, 0, v10, s2
	s_delay_alu instid0(VALU_DEP_3) | instskip(NEXT) | instid1(VALU_DEP_3)
	v_cmp_le_u32_e32 vcc_lo, s24, v13
	v_cmp_eq_u32_e64 s2, s25, v5
	s_wait_alu 0xfffd
	v_cndmask_b32_e64 v13, 0, -1, vcc_lo
	v_cmp_le_u32_e32 vcc_lo, s25, v10
	s_wait_alu 0xfffd
	v_cndmask_b32_e64 v14, 0, -1, vcc_lo
	v_cmp_le_u32_e32 vcc_lo, s24, v4
	;; [unrolled: 3-line block ×3, first 2 shown]
	s_wait_alu 0xfffd
	v_cndmask_b32_e64 v15, 0, -1, vcc_lo
	v_cmp_eq_u32_e32 vcc_lo, s25, v10
	s_wait_alu 0xf1ff
	s_delay_alu instid0(VALU_DEP_2)
	v_cndmask_b32_e64 v4, v15, v4, s2
	s_wait_alu 0xfffd
	v_cndmask_b32_e32 v10, v14, v13, vcc_lo
	v_add_co_u32 v13, vcc_lo, v9, 1
	s_wait_alu 0xfffd
	v_add_co_ci_u32_e32 v14, vcc_lo, 0, v6, vcc_lo
	s_delay_alu instid0(VALU_DEP_3) | instskip(SKIP_1) | instid1(VALU_DEP_2)
	v_cmp_ne_u32_e32 vcc_lo, 0, v10
	s_wait_alu 0xfffd
	v_dual_cndmask_b32 v5, v14, v12 :: v_dual_cndmask_b32 v10, v13, v11
	v_cmp_ne_u32_e32 vcc_lo, 0, v4
	s_wait_alu 0xfffd
	s_delay_alu instid0(VALU_DEP_2)
	v_dual_cndmask_b32 v6, v6, v5 :: v_dual_cndmask_b32 v5, v9, v10
.LBB0_4:                                ;   in Loop: Header=BB0_2 Depth=1
	s_wait_alu 0xfffe
	s_and_not1_saveexec_b32 s2, s26
	s_cbranch_execz .LBB0_6
; %bb.5:                                ;   in Loop: Header=BB0_2 Depth=1
	v_cvt_f32_u32_e32 v4, s24
	s_sub_co_i32 s26, 0, s24
	s_delay_alu instid0(VALU_DEP_1) | instskip(NEXT) | instid1(TRANS32_DEP_1)
	v_rcp_iflag_f32_e32 v4, v4
	v_mul_f32_e32 v4, 0x4f7ffffe, v4
	s_delay_alu instid0(VALU_DEP_1) | instskip(SKIP_1) | instid1(VALU_DEP_1)
	v_cvt_u32_f32_e32 v4, v4
	s_wait_alu 0xfffe
	v_mul_lo_u32 v5, s26, v4
	s_delay_alu instid0(VALU_DEP_1) | instskip(NEXT) | instid1(VALU_DEP_1)
	v_mul_hi_u32 v5, v4, v5
	v_add_nc_u32_e32 v4, v4, v5
	s_delay_alu instid0(VALU_DEP_1) | instskip(NEXT) | instid1(VALU_DEP_1)
	v_mul_hi_u32 v4, v7, v4
	v_mul_lo_u32 v5, v4, s24
	v_add_nc_u32_e32 v6, 1, v4
	s_delay_alu instid0(VALU_DEP_2) | instskip(NEXT) | instid1(VALU_DEP_1)
	v_sub_nc_u32_e32 v5, v7, v5
	v_subrev_nc_u32_e32 v9, s24, v5
	v_cmp_le_u32_e32 vcc_lo, s24, v5
	s_wait_alu 0xfffd
	s_delay_alu instid0(VALU_DEP_2) | instskip(NEXT) | instid1(VALU_DEP_1)
	v_dual_cndmask_b32 v5, v5, v9 :: v_dual_cndmask_b32 v4, v4, v6
	v_cmp_le_u32_e32 vcc_lo, s24, v5
	s_delay_alu instid0(VALU_DEP_2) | instskip(SKIP_1) | instid1(VALU_DEP_1)
	v_add_nc_u32_e32 v6, 1, v4
	s_wait_alu 0xfffd
	v_dual_cndmask_b32 v5, v4, v6 :: v_dual_mov_b32 v6, v3
.LBB0_6:                                ;   in Loop: Header=BB0_2 Depth=1
	s_wait_alu 0xfffe
	s_or_b32 exec_lo, exec_lo, s2
	s_delay_alu instid0(VALU_DEP_1) | instskip(NEXT) | instid1(VALU_DEP_2)
	v_mul_lo_u32 v4, v6, s24
	v_mul_lo_u32 v11, v5, s25
	s_load_b64 s[26:27], s[18:19], 0x0
	v_mad_co_u64_u32 v[9:10], null, v5, s24, 0
	s_load_b64 s[24:25], s[16:17], 0x0
	s_add_nc_u64 s[20:21], s[20:21], 1
	s_add_nc_u64 s[16:17], s[16:17], 8
	s_wait_alu 0xfffe
	v_cmp_ge_u64_e64 s2, s[20:21], s[10:11]
	s_add_nc_u64 s[18:19], s[18:19], 8
	s_add_nc_u64 s[22:23], s[22:23], 8
	v_add3_u32 v4, v10, v11, v4
	v_sub_co_u32 v7, vcc_lo, v7, v9
	s_wait_alu 0xfffd
	s_delay_alu instid0(VALU_DEP_2) | instskip(SKIP_2) | instid1(VALU_DEP_1)
	v_sub_co_ci_u32_e32 v4, vcc_lo, v8, v4, vcc_lo
	s_and_b32 vcc_lo, exec_lo, s2
	s_wait_kmcnt 0x0
	v_mul_lo_u32 v8, s26, v4
	v_mul_lo_u32 v9, s27, v7
	v_mad_co_u64_u32 v[19:20], null, s26, v7, v[19:20]
	v_mul_lo_u32 v4, s24, v4
	v_mul_lo_u32 v10, s25, v7
	v_mad_co_u64_u32 v[1:2], null, s24, v7, v[1:2]
	s_delay_alu instid0(VALU_DEP_4) | instskip(NEXT) | instid1(VALU_DEP_2)
	v_add3_u32 v20, v9, v20, v8
	v_add3_u32 v2, v10, v2, v4
	s_wait_alu 0xfffe
	s_cbranch_vccnz .LBB0_9
; %bb.7:                                ;   in Loop: Header=BB0_2 Depth=1
	v_dual_mov_b32 v8, v6 :: v_dual_mov_b32 v7, v5
	s_branch .LBB0_2
.LBB0_8:
	v_dual_mov_b32 v1, v19 :: v_dual_mov_b32 v2, v20
	v_dual_mov_b32 v5, v7 :: v_dual_mov_b32 v6, v8
.LBB0_9:
	s_load_b64 s[0:1], s[0:1], 0x28
	v_and_b32_e32 v3, 15, v0
	s_lshl_b64 s[10:11], s[10:11], 3
                                        ; implicit-def: $vgpr7
                                        ; implicit-def: $vgpr11
                                        ; implicit-def: $vgpr12
                                        ; implicit-def: $vgpr8
                                        ; implicit-def: $vgpr14
                                        ; implicit-def: $vgpr9
                                        ; implicit-def: $vgpr16
                                        ; implicit-def: $vgpr10
                                        ; implicit-def: $vgpr18
	s_wait_kmcnt 0x0
	v_cmp_gt_u64_e32 vcc_lo, s[0:1], v[5:6]
	v_cmp_le_u64_e64 s0, s[0:1], v[5:6]
	s_delay_alu instid0(VALU_DEP_1)
	s_and_saveexec_b32 s1, s0
	s_wait_alu 0xfffe
	s_xor_b32 s0, exec_lo, s1
; %bb.10:
	v_and_b32_e32 v3, 15, v0
                                        ; implicit-def: $vgpr19_vgpr20
	s_delay_alu instid0(VALU_DEP_1)
	v_or_b32_e32 v7, 16, v3
	v_or_b32_e32 v11, 0x50, v3
	;; [unrolled: 1-line block ×9, first 2 shown]
; %bb.11:
	s_wait_alu 0xfffe
	s_or_saveexec_b32 s1, s0
	s_add_nc_u64 s[2:3], s[14:15], s[10:11]
                                        ; implicit-def: $vgpr15
                                        ; implicit-def: $vgpr13
                                        ; implicit-def: $vgpr42
                                        ; implicit-def: $vgpr46
                                        ; implicit-def: $vgpr44
                                        ; implicit-def: $vgpr39
                                        ; implicit-def: $vgpr45
                                        ; implicit-def: $vgpr40
                                        ; implicit-def: $vgpr43
                                        ; implicit-def: $vgpr41
                                        ; implicit-def: $vgpr26
                                        ; implicit-def: $vgpr31
                                        ; implicit-def: $vgpr27
                                        ; implicit-def: $vgpr28
                                        ; implicit-def: $vgpr30
                                        ; implicit-def: $vgpr24
                                        ; implicit-def: $vgpr33
                                        ; implicit-def: $vgpr25
                                        ; implicit-def: $vgpr29
                                        ; implicit-def: $vgpr34
                                        ; implicit-def: $vgpr23
                                        ; implicit-def: $vgpr4
                                        ; implicit-def: $vgpr21
                                        ; implicit-def: $vgpr22
                                        ; implicit-def: $vgpr0
                                        ; implicit-def: $vgpr37
                                        ; implicit-def: $vgpr38
                                        ; implicit-def: $vgpr35
                                        ; implicit-def: $vgpr36
                                        ; implicit-def: $vgpr32
	s_wait_alu 0xfffe
	s_xor_b32 exec_lo, exec_lo, s1
	s_cbranch_execz .LBB0_13
; %bb.12:
	s_add_nc_u64 s[10:11], s[12:13], s[10:11]
	v_lshlrev_b64_e32 v[9:10], 2, v[19:20]
	s_load_b64 s[10:11], s[10:11], 0x0
	v_or_b32_e32 v12, 0x60, v3
	v_or_b32_e32 v16, 0x80, v3
	;; [unrolled: 1-line block ×5, first 2 shown]
	s_wait_kmcnt 0x0
	v_mul_lo_u32 v0, s11, v5
	v_mul_lo_u32 v4, s10, v6
	v_mad_co_u64_u32 v[7:8], null, s10, v5, 0
	s_delay_alu instid0(VALU_DEP_1) | instskip(NEXT) | instid1(VALU_DEP_1)
	v_add3_u32 v8, v8, v4, v0
	v_lshlrev_b64_e32 v[7:8], 2, v[7:8]
	s_delay_alu instid0(VALU_DEP_1) | instskip(SKIP_1) | instid1(VALU_DEP_2)
	v_add_co_u32 v0, s0, s4, v7
	s_wait_alu 0xf1ff
	v_add_co_ci_u32_e64 v4, s0, s5, v8, s0
	v_lshlrev_b32_e32 v7, 2, v3
	s_delay_alu instid0(VALU_DEP_3) | instskip(SKIP_1) | instid1(VALU_DEP_3)
	v_add_co_u32 v0, s0, v0, v9
	s_wait_alu 0xf1ff
	v_add_co_ci_u32_e64 v4, s0, v4, v10, s0
	v_or_b32_e32 v10, 64, v3
	s_delay_alu instid0(VALU_DEP_3) | instskip(SKIP_1) | instid1(VALU_DEP_3)
	v_add_co_u32 v7, s0, v0, v7
	s_wait_alu 0xf1ff
	v_add_co_ci_u32_e64 v8, s0, 0, v4, s0
	v_or_b32_e32 v9, 48, v3
	s_clause 0x13
	global_load_b32 v13, v[7:8], off
	global_load_b32 v39, v[7:8], off offset:512
	global_load_b32 v40, v[7:8], off offset:768
	;; [unrolled: 1-line block ×19, first 2 shown]
	v_or_b32_e32 v8, 32, v3
	v_or_b32_e32 v7, 16, v3
	s_wait_loadcnt 0x13
	v_lshrrev_b32_e32 v15, 16, v13
	s_wait_loadcnt 0x12
	v_lshrrev_b32_e32 v44, 16, v39
	;; [unrolled: 2-line block ×10, first 2 shown]
.LBB0_13:
	s_or_b32 exec_lo, exec_lo, s1
	v_add_f16_e32 v19, v39, v40
	v_add_f16_e32 v20, v13, v46
	v_sub_f16_e32 v47, v42, v43
	v_add_f16_e32 v50, v46, v41
	v_sub_f16_e32 v48, v46, v39
	v_fma_f16 v49, -0.5, v19, v13
	v_sub_f16_e32 v19, v41, v40
	v_add_f16_e32 v20, v20, v39
	v_sub_f16_e32 v51, v44, v45
	v_fmac_f16_e32 v13, -0.5, v50
	v_fmamk_f16 v52, v47, 0x3b9c, v49
	v_fmac_f16_e32 v49, 0xbb9c, v47
	v_add_f16_e32 v48, v48, v19
	v_add_f16_e32 v20, v20, v40
	v_mul_u32_u24_e32 v50, 0x140, v17
	v_fmac_f16_e32 v52, 0x38b4, v51
	v_fmamk_f16 v19, v51, 0xbb9c, v13
	v_fmac_f16_e32 v49, 0xb8b4, v51
	v_sub_f16_e32 v17, v39, v46
	v_sub_f16_e32 v53, v40, v41
	v_fmac_f16_e32 v13, 0x3b9c, v51
	v_add_f16_e32 v51, v15, v42
	v_add_f16_e32 v54, v44, v45
	;; [unrolled: 1-line block ×3, first 2 shown]
	v_fmac_f16_e32 v19, 0x38b4, v47
	v_add_f16_e32 v17, v17, v53
	v_fmac_f16_e32 v13, 0xb8b4, v47
	v_add_f16_e32 v47, v51, v44
	v_fma_f16 v51, -0.5, v54, v15
	v_sub_f16_e32 v41, v46, v41
	v_fmac_f16_e32 v52, 0x34f2, v48
	v_fmac_f16_e32 v49, 0x34f2, v48
	v_fmac_f16_e32 v19, 0x34f2, v17
	v_fmac_f16_e32 v13, 0x34f2, v17
	v_add_f16_e32 v46, v47, v45
	v_fmamk_f16 v17, v41, 0xbb9c, v51
	v_add_f16_e32 v47, v42, v43
	v_sub_f16_e32 v39, v39, v40
	v_sub_f16_e32 v40, v42, v44
	;; [unrolled: 1-line block ×3, first 2 shown]
	v_fmac_f16_e32 v51, 0x3b9c, v41
	v_sub_f16_e32 v42, v44, v42
	v_sub_f16_e32 v44, v45, v43
	v_fmac_f16_e32 v15, -0.5, v47
	v_fmac_f16_e32 v17, 0xb8b4, v39
	v_add_f16_e32 v40, v40, v48
	v_fmac_f16_e32 v51, 0x38b4, v39
	v_add_f16_e32 v42, v42, v44
	v_fmamk_f16 v45, v39, 0x3b9c, v15
	v_add_f16_e32 v43, v46, v43
	v_fmac_f16_e32 v17, 0x34f2, v40
	v_fmac_f16_e32 v51, 0x34f2, v40
	v_mul_f16_e32 v40, 0x34f2, v42
	v_fmac_f16_e32 v15, 0xbb9c, v39
	s_wait_loadcnt 0x2
	v_pk_add_f16 v42, v38, v37 neg_lo:[0,1] neg_hi:[0,1]
	s_wait_loadcnt 0x0
	v_pk_add_f16 v44, v36, v35 neg_lo:[0,1] neg_hi:[0,1]
	v_add_f16_e32 v46, v37, v35
	v_fmac_f16_e32 v45, 0xb8b4, v41
	v_fmac_f16_e32 v15, 0x38b4, v41
	v_pk_add_f16 v41, v37, v35 neg_lo:[0,1] neg_hi:[0,1]
	v_pk_add_f16 v42, v42, v44
	v_fma_f16 v44, -0.5, v46, v32
	v_lshrrev_b32_e32 v46, 16, v37
	v_lshrrev_b32_e32 v47, 16, v35
	v_pk_add_f16 v48, v38, v36 neg_lo:[0,1] neg_hi:[0,1]
	v_bfi_b32 v42, 0xffff, v42, v41
	v_lshrrev_b32_e32 v53, 16, v38
	v_lshrrev_b32_e32 v54, 16, v32
	v_add_f16_e32 v55, v46, v47
	v_lshrrev_b32_e32 v56, 16, v48
	v_pk_mul_f16 v42, 0x38b434f2, v42
	v_lshrrev_b32_e32 v58, 16, v36
	v_add_f16_e32 v57, v54, v53
	v_fmac_f16_e32 v54, -0.5, v55
	v_fmamk_f16 v55, v56, 0x3b9c, v44
	v_lshrrev_b32_e32 v59, 16, v42
	v_fmac_f16_e32 v44, 0xbb9c, v56
	v_sub_f16_e32 v53, v53, v46
	v_fmamk_f16 v56, v48, 0xbb9c, v54
	v_sub_f16_e32 v60, v58, v47
	v_add_f16_e32 v39, v32, v38
	v_add_f16_e32 v55, v59, v55
	v_sub_f16_e32 v44, v44, v59
	v_fmac_f16_e32 v56, 0xb8b4, v41
	v_add_f16_e32 v53, v53, v60
	v_add_f16_e32 v39, v39, v37
	;; [unrolled: 1-line block ×3, first 2 shown]
	v_fmac_f16_e32 v54, 0x3b9c, v48
	v_add_f16_e32 v42, v42, v44
	v_add_f16_e32 v44, v57, v46
	v_fmac_f16_e32 v56, 0x34f2, v53
	v_add_f16_e32 v39, v39, v35
	v_pk_add_f16 v46, v38, v36
	v_fmac_f16_e32 v54, 0x38b4, v41
	v_pk_add_f16 v37, v37, v38 neg_lo:[0,1] neg_hi:[0,1]
	v_add_f16_e32 v38, v44, v47
	v_mul_f16_e32 v44, 0x38b4, v56
	v_mul_f16_e32 v47, 0xb8b4, v55
	v_add_f16_e32 v39, v39, v36
	v_pk_add_f16 v35, v35, v36 neg_lo:[0,1] neg_hi:[0,1]
	v_fmac_f16_e32 v54, 0x34f2, v53
	v_mul_f16_e32 v36, 0x3a79, v42
	v_add_f16_e32 v38, v38, v58
	v_fmac_f16_e32 v44, 0x3a79, v55
	v_fmac_f16_e32 v47, 0x3a79, v56
	v_add_f16_e32 v56, v24, v25
	v_add_f16_e32 v60, v31, v28
	v_mul_f16_e32 v53, 0x3a79, v54
	v_fma_f16 v36, v54, 0x38b4, -v36
	v_add_f16_e32 v54, v20, v39
	v_add_f16_e32 v55, v52, v44
	;; [unrolled: 1-line block ×3, first 2 shown]
	v_fma_f16 v56, -0.5, v56, v31
	v_sub_f16_e32 v61, v27, v29
	v_sub_f16_e32 v20, v20, v39
	;; [unrolled: 1-line block ×3, first 2 shown]
	v_add_f16_e32 v44, v60, v24
	v_sub_f16_e32 v38, v43, v38
	v_add_f16_e32 v43, v28, v34
	v_fma_f16 v42, v42, 0xb8b4, -v53
	v_add_f16_e32 v53, v49, v36
	v_sub_f16_e32 v36, v49, v36
	v_fmamk_f16 v49, v61, 0x3b9c, v56
	v_sub_f16_e32 v52, v30, v33
	v_sub_f16_e32 v60, v28, v24
	;; [unrolled: 1-line block ×3, first 2 shown]
	v_add_f16_e32 v44, v44, v25
	v_fmac_f16_e32 v56, 0xbb9c, v61
	v_fmac_f16_e32 v31, -0.5, v43
	v_add_f16_e32 v59, v51, v42
	v_fmac_f16_e32 v49, 0x38b4, v52
	v_add_f16_e32 v60, v60, v62
	v_sub_f16_e32 v42, v51, v42
	v_add_f16_e32 v43, v44, v34
	v_fmac_f16_e32 v56, 0xb8b4, v52
	v_fmamk_f16 v44, v52, 0xbb9c, v31
	v_sub_f16_e32 v51, v24, v28
	v_sub_f16_e32 v62, v25, v34
	v_fmac_f16_e32 v31, 0x3b9c, v52
	v_add_f16_e32 v52, v26, v27
	v_add_f16_e32 v63, v30, v33
	v_fmac_f16_e32 v44, 0x38b4, v61
	v_add_f16_e32 v51, v51, v62
	v_fmac_f16_e32 v31, 0xb8b4, v61
	v_add_f16_e32 v52, v52, v30
	v_fma_f16 v61, -0.5, v63, v26
	v_sub_f16_e32 v28, v28, v34
	v_fmac_f16_e32 v49, 0x34f2, v60
	v_fmac_f16_e32 v56, 0x34f2, v60
	;; [unrolled: 1-line block ×4, first 2 shown]
	v_add_f16_e32 v34, v52, v33
	v_fmamk_f16 v51, v28, 0xbb9c, v61
	v_add_f16_e32 v52, v27, v29
	v_sub_f16_e32 v24, v24, v25
	v_sub_f16_e32 v25, v27, v30
	;; [unrolled: 1-line block ×3, first 2 shown]
	v_fmac_f16_e32 v61, 0x3b9c, v28
	v_sub_f16_e32 v27, v30, v27
	v_sub_f16_e32 v30, v33, v29
	v_fmac_f16_e32 v26, -0.5, v52
	v_fmac_f16_e32 v51, 0xb8b4, v24
	v_add_f16_e32 v25, v25, v60
	v_fmac_f16_e32 v61, 0x38b4, v24
	v_add_f16_e32 v27, v27, v30
	v_fmamk_f16 v33, v24, 0x3b9c, v26
	v_add_f16_e32 v29, v34, v29
	v_fmac_f16_e32 v51, 0x34f2, v25
	v_fmac_f16_e32 v61, 0x34f2, v25
	v_mul_f16_e32 v34, 0x34f2, v27
	v_fmac_f16_e32 v26, 0xbb9c, v24
	v_pk_add_f16 v25, v4, v23 neg_lo:[0,1] neg_hi:[0,1]
	v_pk_add_f16 v27, v22, v21 neg_lo:[0,1] neg_hi:[0,1]
	v_fmac_f16_e32 v33, 0xb8b4, v28
	v_add_f16_e32 v30, v23, v21
	v_fmac_f16_e32 v26, 0x38b4, v28
	v_pk_add_f16 v28, v23, v21 neg_lo:[0,1] neg_hi:[0,1]
	v_pk_add_f16 v25, v25, v27
	v_lshrrev_b32_e32 v52, 16, v21
	v_fma_f16 v27, -0.5, v30, v0
	v_lshrrev_b32_e32 v30, 16, v23
	v_pk_add_f16 v60, v4, v22 neg_lo:[0,1] neg_hi:[0,1]
	v_bfi_b32 v25, 0xffff, v25, v28
	v_lshrrev_b32_e32 v62, 16, v4
	v_lshrrev_b32_e32 v63, 16, v0
	v_add_f16_e32 v64, v30, v52
	v_lshrrev_b32_e32 v65, 16, v60
	v_pk_mul_f16 v25, 0x38b434f2, v25
	v_lshrrev_b32_e32 v67, 16, v22
	v_add_f16_e32 v66, v63, v62
	v_fmac_f16_e32 v63, -0.5, v64
	v_fmamk_f16 v64, v65, 0x3b9c, v27
	v_lshrrev_b32_e32 v68, 16, v25
	v_fmac_f16_e32 v27, 0xbb9c, v65
	v_add_f16_e32 v24, v0, v4
	v_fmamk_f16 v65, v60, 0xbb9c, v63
	v_sub_f16_e32 v62, v62, v30
	v_sub_f16_e32 v69, v67, v52
	v_add_f16_e32 v64, v68, v64
	v_sub_f16_e32 v27, v27, v68
	v_fmac_f16_e32 v63, 0x3b9c, v60
	v_add_f16_e32 v24, v24, v23
	v_add_f16_e32 v62, v62, v69
	;; [unrolled: 1-line block ×5, first 2 shown]
	v_fmac_f16_e32 v63, 0x38b4, v28
	v_add_f16_e32 v24, v24, v21
	v_fmac_f16_e32 v65, 0xb8b4, v28
	v_pk_add_f16 v30, v4, v22
	v_pk_add_f16 v23, v23, v4 neg_lo:[0,1] neg_hi:[0,1]
	v_add_f16_e32 v4, v27, v52
	v_fmac_f16_e32 v63, 0x34f2, v62
	v_add_f16_e32 v24, v24, v22
	v_fmac_f16_e32 v65, 0x34f2, v62
	v_pk_add_f16 v52, v21, v22 neg_lo:[0,1] neg_hi:[0,1]
	v_add_f16_e32 v22, v4, v67
	v_mul_f16_e32 v4, 0x3a79, v63
	v_mul_f16_e32 v21, 0x3a79, v25
	;; [unrolled: 1-line block ×4, first 2 shown]
	v_pack_b32_f16 v20, v53, v20
	v_fma_f16 v25, v25, 0xb8b4, -v4
	v_lshlrev_b32_e32 v4, 1, v50
	v_fmac_f16_e32 v27, 0x3a79, v64
	v_fma_f16 v21, v63, 0x38b4, -v21
	v_add_f16_e32 v63, v43, v24
	v_sub_f16_e32 v43, v43, v24
	v_mul_u32_u24_e32 v24, 10, v3
	v_add_nc_u32_e32 v68, 0, v4
	v_add_f16_e32 v64, v49, v27
	v_fmac_f16_e32 v62, 0x3a79, v65
	v_add_f16_e32 v65, v56, v21
	v_add_f16_e32 v67, v61, v25
	v_sub_f16_e32 v49, v49, v27
	v_sub_f16_e32 v56, v56, v21
	;; [unrolled: 1-line block ×3, first 2 shown]
	v_lshl_add_u32 v70, v24, 1, v68
	v_pack_b32_f16 v21, v54, v55
	v_pk_fma_f16 v25, v30, 0.5, v0 op_sel_hi:[1,0,1] neg_lo:[1,0,0] neg_hi:[1,0,0]
	v_pk_mul_f16 v27, 0x3b9c, v28 op_sel_hi:[0,1]
	s_load_b64 s[2:3], s[2:3], 0x0
	ds_store_b32 v70, v21
	ds_store_b32 v70, v20 offset:8
	ds_store_b16 v70, v39 offset:12
	ds_store_b16 v70, v36 offset:18
	v_pk_mul_f16 v20, 0x38b4, v60 op_sel_hi:[0,1]
	v_pk_add_f16 v28, v25, v27 op_sel:[0,1] op_sel_hi:[1,0] neg_lo:[0,1] neg_hi:[0,1]
	v_pk_add_f16 v25, v27, v25 op_sel:[1,0] op_sel_hi:[0,1]
	v_pk_add_f16 v23, v23, v52
	v_pack_b32_f16 v33, v26, v33
	v_pk_fma_f16 v32, v46, 0.5, v32 op_sel_hi:[1,0,1] neg_lo:[1,0,0] neg_hi:[1,0,0]
	v_pk_add_f16 v28, v20, v28 op_sel:[1,0] op_sel_hi:[0,1]
	v_pk_add_f16 v20, v25, v20 op_sel:[0,1] op_sel_hi:[1,0] neg_lo:[0,1] neg_hi:[0,1]
	v_pk_mul_f16 v41, 0x3b9c, v41 op_sel_hi:[0,1]
	v_pk_add_f16 v33, v34, v33 op_sel_hi:[0,1]
	v_pk_mul_f16 v48, 0x38b4, v48 op_sel_hi:[0,1]
	v_pk_fma_f16 v39, 0x34f2, v23, v28 op_sel_hi:[0,1,1]
	v_pk_fma_f16 v20, 0x34f2, v23, v20 op_sel_hi:[0,1,1]
	v_pk_add_f16 v35, v37, v35
	v_add_f16_e32 v66, v29, v22
	v_sub_f16_e32 v69, v29, v22
	v_mul_f16_e32 v52, 0x34f2, v39
	v_lshrrev_b32_e32 v53, 16, v20
	v_mul_f16_e32 v34, 0x34f2, v20
	v_mul_i32_i24_e32 v22, 10, v7
	v_pack_b32_f16 v15, v15, v45
	v_pack_b32_f16 v43, v65, v43
	v_fmac_f16_e32 v52, 0x3b9c, v53
	v_lshrrev_b32_e32 v53, 16, v39
	v_pk_mul_f16 v39, 0x34f23b9c, v39
	v_lshl_add_u32 v36, v22, 1, v68
	v_pk_add_f16 v15, v40, v15 op_sel_hi:[0,1]
	v_add_f16_e32 v46, v44, v52
	v_fma_f16 v34, v53, 0x3b9c, -v34
	v_pk_add_f16 v53, v32, v41 op_sel:[0,1] op_sel_hi:[1,0] neg_lo:[0,1] neg_hi:[0,1]
	v_pk_add_f16 v32, v41, v32 op_sel:[1,0] op_sel_hi:[0,1]
	v_pk_fma_f16 v20, 0x34f2bb9c, v20, v39 op_sel:[0,0,1] op_sel_hi:[1,1,0] neg_lo:[0,0,1] neg_hi:[0,0,1]
	v_sub_f16_e32 v44, v44, v52
	v_add_f16_e32 v39, v31, v34
	v_pk_add_f16 v37, v48, v53 op_sel:[1,0] op_sel_hi:[0,1]
	v_pk_add_f16 v32, v32, v48 op_sel:[0,1] op_sel_hi:[1,0] neg_lo:[0,1] neg_hi:[0,1]
	v_sub_f16_e32 v31, v31, v34
	v_pack_b32_f16 v44, v49, v44
	v_add_f16_e32 v58, v17, v47
	v_pk_fma_f16 v34, 0x34f2, v35, v37 op_sel_hi:[0,1,1]
	v_pk_fma_f16 v32, 0x34f2, v35, v32 op_sel_hi:[0,1,1]
	v_pack_b32_f16 v37, v46, v39
	v_pack_b32_f16 v39, v63, v64
	;; [unrolled: 1-line block ×3, first 2 shown]
	v_mul_f16_e32 v46, 0x34f2, v34
	v_lshrrev_b32_e32 v48, 16, v32
	v_mul_f16_e32 v52, 0x34f2, v32
	v_lshrrev_b32_e32 v53, 16, v34
	v_pk_mul_f16 v34, 0x34f23b9c, v34
	ds_store_2addr_b32 v36, v39, v37 offset1:1
	ds_store_2addr_b32 v36, v43, v44 offset0:2 offset1:3
	ds_store_b32 v36, v31 offset:16
	v_fmac_f16_e32 v46, 0x3b9c, v48
	v_lshlrev_b32_e32 v24, 1, v3
	v_fma_f16 v45, v53, 0x3b9c, -v52
	v_pk_fma_f16 v32, 0x34f2bb9c, v32, v34 op_sel:[0,0,1] op_sel_hi:[1,1,0] neg_lo:[0,0,1] neg_hi:[0,0,1]
	v_lshl_add_u32 v25, v12, 1, v68
	v_add_f16_e32 v40, v19, v46
	v_sub_f16_e32 v19, v19, v46
	v_add_f16_e32 v48, v13, v45
	v_pk_add_f16 v34, v15, v32
	v_sub_f16_e32 v37, v15, v32
	v_bfi_b32 v15, 0xffff, v17, v15
	v_bfi_b32 v17, 0xffff, v47, v32
	v_pack_b32_f16 v31, v40, v48
	v_sub_f16_e32 v13, v13, v45
	ds_store_b32 v70, v31 offset:4
	ds_store_b16 v70, v19 offset:14
	ds_store_b16 v70, v13 offset:16
	v_alignbit_b32 v19, v34, v34, 16
	v_pack_b32_f16 v31, v57, v58
	v_add_nc_u32_e32 v34, -10, v3
	v_cmp_gt_u32_e64 s0, 10, v3
	v_lshl_add_u32 v27, v8, 1, v68
	v_pk_add_f16 v15, v15, v17 neg_lo:[0,1] neg_hi:[0,1]
	v_pack_b32_f16 v17, v59, v38
	v_lshl_add_u32 v30, v14, 1, v68
	v_pack_b32_f16 v32, v37, v42
	v_add_nc_u32_e32 v0, v68, v24
	v_lshl_add_u32 v21, v11, 1, v68
	v_add3_u32 v22, 0, v24, v4
	v_mad_i32_i24 v24, 0xffffffee, v7, v36
	v_lshl_add_u32 v23, v9, 1, v68
	v_lshl_add_u32 v26, v16, 1, v68
	;; [unrolled: 1-line block ×4, first 2 shown]
	global_wb scope:SCOPE_SE
	s_wait_dscnt 0x0
	s_wait_kmcnt 0x0
	s_barrier_signal -1
	s_barrier_wait -1
	global_inv scope:SCOPE_SE
	ds_load_u16 v13, v25
	ds_load_u16 v46, v27
	;; [unrolled: 1-line block ×5, first 2 shown]
	ds_load_u16 v53, v22 offset:320
	ds_load_u16 v54, v22 offset:352
	;; [unrolled: 1-line block ×7, first 2 shown]
	ds_load_u16 v65, v23
	ds_load_u16 v68, v26
	ds_load_u16 v71, v28
	ds_load_u16 v72, v29
	ds_load_u16 v73, v22 offset:480
	ds_load_u16 v74, v22 offset:448
	ds_load_u16 v75, v24
	ds_load_u16 v76, v22 offset:608
	global_wb scope:SCOPE_SE
	s_wait_dscnt 0x0
	s_barrier_signal -1
	s_barrier_wait -1
	global_inv scope:SCOPE_SE
	ds_store_2addr_b32 v70, v31, v19 offset1:1
	ds_store_2addr_b32 v70, v17, v15 offset0:2 offset1:3
	ds_store_b32 v70, v32 offset:16
	s_wait_alu 0xf1ff
	v_cndmask_b32_e64 v17, v34, v3, s0
	v_and_b32_e32 v32, 0xff, v7
	v_add_f16_e32 v50, v51, v62
	v_pk_add_f16 v41, v33, v20
	v_sub_f16_e32 v35, v33, v20
	v_bfi_b32 v31, 0xffff, v51, v33
	v_bfi_b32 v33, 0xffff, v62, v20
	v_mul_i32_i24_e32 v19, 3, v17
	v_mov_b32_e32 v20, 0
	v_mul_lo_u16 v37, 0xcd, v32
	v_alignbit_b32 v15, v41, v41, 16
	v_pack_b32_f16 v34, v66, v50
	v_pk_add_f16 v33, v31, v33 neg_lo:[0,1] neg_hi:[0,1]
	v_lshlrev_b64_e32 v[31:32], 2, v[19:20]
	v_lshrrev_b16 v19, 11, v37
	v_pack_b32_f16 v38, v67, v69
	v_pack_b32_f16 v35, v35, v61
	ds_store_2addr_b32 v36, v34, v15 offset1:1
	ds_store_2addr_b32 v36, v38, v33 offset0:2 offset1:3
	ds_store_b32 v36, v35 offset:16
	v_mul_lo_u16 v15, v19, 10
	v_and_b32_e32 v34, 0xff, v8
	v_add_co_u32 v31, s0, s8, v31
	s_wait_alu 0xf1ff
	v_add_co_ci_u32_e64 v32, s0, s9, v32, s0
	v_sub_nc_u16 v15, v7, v15
	v_mul_lo_u16 v34, 0xcd, v34
	global_wb scope:SCOPE_SE
	s_wait_dscnt 0x0
	s_barrier_signal -1
	s_barrier_wait -1
	v_and_b32_e32 v15, 0xff, v15
	global_inv scope:SCOPE_SE
	global_load_b96 v[31:33], v[31:32], off
	v_lshrrev_b16 v47, 11, v34
	v_and_b32_e32 v38, 0xff, v9
	v_mul_u32_u24_e32 v35, 3, v15
	v_and_b32_e32 v39, 0xff, v10
	v_cmp_lt_u32_e64 s0, 9, v3
	v_mul_lo_u16 v37, v47, 10
	v_mul_lo_u16 v38, 0xcd, v38
	v_lshlrev_b32_e32 v34, 2, v35
	v_mul_lo_u16 v41, 0xcd, v39
	v_lshlrev_b32_e32 v17, 1, v17
	v_sub_nc_u16 v37, v8, v37
	v_lshrrev_b16 v51, 11, v38
	global_load_b96 v[34:36], v34, s[8:9]
	v_lshrrev_b16 v58, 11, v41
	v_and_b32_e32 v19, 0xffff, v19
	v_and_b32_e32 v50, 0xff, v37
	v_mul_lo_u16 v38, v51, 10
	v_and_b32_e32 v47, 0xffff, v47
	v_mul_lo_u16 v41, v58, 10
	v_mad_u32_u24 v19, 0x50, v19, 0
	v_mul_u32_u24_e32 v37, 3, v50
	v_sub_nc_u16 v40, v9, v38
	v_lshlrev_b32_e32 v15, 1, v15
	v_sub_nc_u16 v43, v10, v41
	v_mad_u32_u24 v47, 0x50, v47, 0
	v_lshlrev_b32_e32 v37, 2, v37
	v_and_b32_e32 v57, 0xff, v40
	v_lshlrev_b32_e32 v50, 1, v50
	v_and_b32_e32 v59, 0xff, v43
	v_and_b32_e32 v51, 0xffff, v51
	global_load_b96 v[37:39], v37, s[8:9]
	v_mul_u32_u24_e32 v40, 3, v57
	v_add3_u32 v15, v19, v15, v4
	v_mul_u32_u24_e32 v43, 3, v59
	v_add3_u32 v19, v47, v50, v4
	v_and_b32_e32 v47, 0xffff, v58
	v_lshlrev_b32_e32 v40, 2, v40
	s_delay_alu instid0(VALU_DEP_4)
	v_lshlrev_b32_e32 v43, 2, v43
	s_clause 0x1
	global_load_b96 v[40:42], v40, s[8:9]
	global_load_b96 v[43:45], v43, s[8:9]
	ds_load_u16 v61, v21
	ds_load_u16 v62, v22 offset:320
	ds_load_u16 v66, v22 offset:480
	ds_load_u16 v67, v25
	ds_load_u16 v69, v22 offset:512
	ds_load_u16 v78, v22 offset:352
	;; [unrolled: 1-line block ×5, first 2 shown]
	s_wait_loadcnt 0x4
	v_lshrrev_b32_e32 v70, 16, v31
	v_lshrrev_b32_e32 v77, 16, v32
	;; [unrolled: 1-line block ×3, first 2 shown]
	s_wait_dscnt 0x8
	s_delay_alu instid0(VALU_DEP_3)
	v_mul_f16_e32 v82, v61, v70
	v_mul_f16_e32 v70, v52, v70
	s_wait_dscnt 0x7
	v_mul_f16_e32 v83, v62, v77
	v_mul_f16_e32 v77, v53, v77
	v_fma_f16 v52, v52, v31, -v82
	v_fmac_f16_e32 v70, v61, v31
	s_delay_alu instid0(VALU_DEP_4) | instskip(NEXT) | instid1(VALU_DEP_4)
	v_fma_f16 v31, v53, v32, -v83
	v_fmac_f16_e32 v77, v62, v32
	s_wait_dscnt 0x6
	v_mul_f16_e32 v32, v66, v84
	v_mul_f16_e32 v53, v73, v84
	s_wait_loadcnt 0x3
	v_lshrrev_b32_e32 v61, 16, v34
	ds_load_u16 v62, v27
	ds_load_u16 v82, v30
	v_lshrrev_b32_e32 v84, 16, v36
	v_fma_f16 v32, v73, v33, -v32
	v_fmac_f16_e32 v53, v66, v33
	s_wait_dscnt 0x7
	v_mul_f16_e32 v33, v67, v61
	v_lshrrev_b32_e32 v66, 16, v35
	v_mul_f16_e32 v61, v13, v61
	ds_load_u16 v73, v22 offset:544
	ds_load_u16 v83, v22 offset:576
	v_sub_f16_e32 v31, v49, v31
	v_fma_f16 v13, v13, v34, -v33
	s_wait_dscnt 0x7
	v_mul_f16_e32 v33, v78, v66
	v_mul_f16_e32 v66, v54, v66
	v_fmac_f16_e32 v61, v67, v34
	ds_load_u16 v34, v22 offset:608
	s_wait_loadcnt 0x2
	v_lshrrev_b32_e32 v67, 16, v37
	v_fma_f16 v33, v54, v35, -v33
	v_mul_f16_e32 v54, v69, v84
	v_fmac_f16_e32 v66, v78, v35
	v_mul_f16_e32 v35, v60, v84
	v_lshrrev_b32_e32 v78, 16, v39
	ds_load_u16 v84, v29
	v_fma_f16 v54, v60, v36, -v54
	ds_load_u16 v60, v26
	v_fmac_f16_e32 v35, v69, v36
	s_wait_dscnt 0x5
	v_mul_f16_e32 v36, v82, v67
	v_lshrrev_b32_e32 v69, 16, v38
	v_mul_f16_e32 v67, v48, v67
	v_sub_f16_e32 v32, v52, v32
	v_fma_f16 v49, v49, 2.0, -v31
	v_fma_f16 v36, v48, v37, -v36
	v_mul_f16_e32 v48, v79, v69
	v_mul_f16_e32 v69, v55, v69
	v_fmac_f16_e32 v67, v82, v37
	s_wait_dscnt 0x4
	v_mul_f16_e32 v37, v73, v78
	s_wait_loadcnt 0x1
	v_lshrrev_b32_e32 v82, 16, v42
	v_fma_f16 v48, v55, v38, -v48
	v_fmac_f16_e32 v69, v79, v38
	v_mul_f16_e32 v38, v63, v78
	v_lshrrev_b32_e32 v55, 16, v40
	v_fma_f16 v37, v63, v39, -v37
	v_lshrrev_b32_e32 v63, 16, v41
	ds_load_u16 v78, v28
	v_fmac_f16_e32 v38, v73, v39
	s_wait_dscnt 0x1
	v_mul_f16_e32 v39, v60, v55
	v_mul_f16_e32 v55, v68, v55
	;; [unrolled: 1-line block ×3, first 2 shown]
	v_fma_f16 v52, v52, 2.0, -v32
	v_sub_f16_e32 v33, v75, v33
	v_fma_f16 v39, v68, v40, -v39
	v_fmac_f16_e32 v55, v60, v40
	v_fma_f16 v40, v56, v41, -v73
	ds_load_u16 v73, v24
	v_mul_f16_e32 v56, v56, v63
	v_mul_f16_e32 v60, v83, v82
	v_mul_f16_e32 v63, v64, v82
	s_wait_loadcnt 0x0
	v_lshrrev_b32_e32 v68, 16, v43
	v_sub_f16_e32 v52, v49, v52
	v_fmac_f16_e32 v56, v80, v41
	v_fma_f16 v41, v64, v42, -v60
	v_fmac_f16_e32 v63, v83, v42
	v_mul_f16_e32 v42, v84, v68
	v_mul_f16_e32 v60, v72, v68
	ds_load_u16 v68, v23
	ds_load_u16 v79, v0
	v_lshrrev_b32_e32 v64, 16, v44
	v_lshrrev_b32_e32 v80, 16, v45
	v_fma_f16 v42, v72, v43, -v42
	v_fmac_f16_e32 v60, v84, v43
	v_sub_f16_e32 v53, v70, v53
	v_mul_f16_e32 v43, v81, v64
	v_mul_f16_e32 v64, v74, v64
	v_sub_f16_e32 v35, v61, v35
	v_sub_f16_e32 v48, v46, v48
	v_fma_f16 v70, v70, 2.0, -v53
	v_fma_f16 v43, v74, v44, -v43
	v_mul_f16_e32 v74, v34, v80
	v_fmac_f16_e32 v64, v81, v44
	v_sub_f16_e32 v53, v31, v53
	v_sub_f16_e32 v37, v36, v37
	;; [unrolled: 1-line block ×3, first 2 shown]
	v_fma_f16 v44, v76, v45, -v74
	v_sub_f16_e32 v41, v39, v41
	v_sub_f16_e32 v43, v71, v43
	s_wait_dscnt 0x0
	v_sub_f16_e32 v72, v79, v77
	v_fma_f16 v61, v61, 2.0, -v35
	v_sub_f16_e32 v44, v42, v44
	v_fma_f16 v31, v31, 2.0, -v53
	v_sub_f16_e32 v69, v62, v69
	v_fma_f16 v77, v79, 2.0, -v72
	v_mul_f16_e32 v79, v76, v80
	s_wait_alu 0xf1ff
	v_cndmask_b32_e64 v76, 0, 0x50, s0
	v_fma_f16 v46, v46, 2.0, -v48
	v_sub_f16_e32 v38, v67, v38
	v_fma_f16 v36, v36, 2.0, -v37
	v_fmac_f16_e32 v79, v34, v45
	v_fma_f16 v34, v49, 2.0, -v52
	v_sub_f16_e32 v49, v13, v54
	v_sub_f16_e32 v54, v73, v66
	v_fma_f16 v66, v75, 2.0, -v33
	v_add_nc_u32_e32 v76, 0, v76
	v_sub_f16_e32 v35, v33, v35
	v_fma_f16 v13, v13, 2.0, -v49
	v_sub_f16_e32 v56, v68, v56
	v_sub_f16_e32 v63, v55, v63
	v_add3_u32 v17, v76, v17, v4
	v_fma_f16 v65, v65, 2.0, -v40
	v_sub_f16_e32 v13, v66, v13
	v_fma_f16 v39, v39, 2.0, -v41
	v_fma_f16 v73, v73, 2.0, -v54
	;; [unrolled: 1-line block ×5, first 2 shown]
	global_wb scope:SCOPE_SE
	s_barrier_signal -1
	s_barrier_wait -1
	global_inv scope:SCOPE_SE
	ds_store_b16 v17, v34
	ds_store_b16 v17, v31 offset:20
	ds_store_b16 v17, v52 offset:40
	;; [unrolled: 1-line block ×3, first 2 shown]
	v_mad_u32_u24 v31, 0x50, v51, 0
	v_lshlrev_b32_e32 v34, 1, v57
	v_sub_f16_e32 v70, v77, v70
	v_fma_f16 v62, v62, 2.0, -v69
	v_fma_f16 v67, v67, 2.0, -v38
	v_sub_f16_e32 v36, v46, v36
	v_fma_f16 v33, v33, 2.0, -v35
	v_fma_f16 v68, v68, 2.0, -v56
	;; [unrolled: 1-line block ×3, first 2 shown]
	v_sub_f16_e32 v39, v65, v39
	v_sub_f16_e32 v64, v78, v64
	;; [unrolled: 1-line block ×3, first 2 shown]
	v_add_f16_e32 v32, v72, v32
	v_sub_f16_e32 v38, v48, v38
	v_sub_f16_e32 v63, v40, v63
	;; [unrolled: 1-line block ×4, first 2 shown]
	ds_store_b16 v15, v66
	ds_store_b16 v15, v33 offset:20
	ds_store_b16 v15, v13 offset:40
	;; [unrolled: 1-line block ×3, first 2 shown]
	v_add3_u32 v13, v31, v34, v4
	v_mad_u32_u24 v31, 0x50, v47, 0
	v_lshlrev_b32_e32 v33, 1, v59
	v_fma_f16 v45, v77, 2.0, -v70
	v_add_f16_e32 v49, v54, v49
	v_sub_f16_e32 v67, v62, v67
	v_fma_f16 v46, v46, 2.0, -v36
	v_add_f16_e32 v37, v69, v37
	v_sub_f16_e32 v55, v68, v55
	v_fma_f16 v65, v65, 2.0, -v39
	v_fma_f16 v75, v78, 2.0, -v64
	;; [unrolled: 1-line block ×3, first 2 shown]
	v_add_f16_e32 v41, v56, v41
	v_sub_f16_e32 v74, v43, v74
	v_fma_f16 v72, v72, 2.0, -v32
	v_fma_f16 v48, v48, 2.0, -v38
	;; [unrolled: 1-line block ×5, first 2 shown]
	v_add3_u32 v31, v31, v33, v4
	v_fma_f16 v54, v54, 2.0, -v49
	v_fma_f16 v62, v62, 2.0, -v67
	;; [unrolled: 1-line block ×4, first 2 shown]
	v_sub_f16_e32 v60, v75, v60
	v_fma_f16 v56, v56, 2.0, -v41
	v_fma_f16 v43, v43, 2.0, -v74
	ds_store_b16 v19, v46
	ds_store_b16 v19, v48 offset:20
	ds_store_b16 v19, v36 offset:40
	ds_store_b16 v19, v38 offset:60
	ds_store_b16 v13, v65
	ds_store_b16 v13, v40 offset:20
	ds_store_b16 v13, v39 offset:40
	ds_store_b16 v13, v63 offset:60
	;; [unrolled: 4-line block ×3, first 2 shown]
	global_wb scope:SCOPE_SE
	s_wait_dscnt 0x0
	s_barrier_signal -1
	s_barrier_wait -1
	global_inv scope:SCOPE_SE
	ds_load_u16 v46, v25
	ds_load_u16 v47, v27
	;; [unrolled: 1-line block ×5, first 2 shown]
	ds_load_u16 v52, v22 offset:320
	ds_load_u16 v53, v22 offset:352
	;; [unrolled: 1-line block ×7, first 2 shown]
	ds_load_u16 v66, v23
	ds_load_u16 v71, v26
	;; [unrolled: 1-line block ×4, first 2 shown]
	ds_load_u16 v77, v22 offset:480
	ds_load_u16 v78, v22 offset:448
	ds_load_u16 v79, v24
	ds_load_u16 v80, v22 offset:608
	global_wb scope:SCOPE_SE
	s_wait_dscnt 0x0
	s_barrier_signal -1
	s_barrier_wait -1
	global_inv scope:SCOPE_SE
	ds_store_b16 v17, v45
	ds_store_b16 v17, v72 offset:20
	ds_store_b16 v17, v70 offset:40
	ds_store_b16 v17, v32 offset:60
	ds_store_b16 v15, v73
	ds_store_b16 v15, v54 offset:20
	ds_store_b16 v15, v61 offset:40
	ds_store_b16 v15, v49 offset:60
	;; [unrolled: 4-line block ×4, first 2 shown]
	v_mul_u32_u24_e32 v13, 3, v3
	v_add_f16_e32 v44, v64, v44
	v_fma_f16 v75, v75, 2.0, -v60
	v_mul_i32_i24_e32 v19, 3, v7
	v_add_nc_u32_e32 v15, -8, v3
	v_lshlrev_b32_e32 v13, 2, v13
	v_fma_f16 v64, v64, 2.0, -v44
	v_cmp_gt_u32_e64 s0, 40, v8
	ds_store_b16 v31, v75
	ds_store_b16 v31, v64 offset:20
	ds_store_b16 v31, v60 offset:40
	;; [unrolled: 1-line block ×3, first 2 shown]
	global_wb scope:SCOPE_SE
	s_wait_dscnt 0x0
	s_barrier_signal -1
	s_barrier_wait -1
	global_inv scope:SCOPE_SE
	global_load_b96 v[31:33], v13, s[8:9] offset:120
	v_lshlrev_b64_e32 v[34:35], 2, v[19:20]
	s_wait_alu 0xf1ff
	v_cndmask_b32_e64 v15, v15, v8, s0
	s_delay_alu instid0(VALU_DEP_2) | instskip(NEXT) | instid1(VALU_DEP_2)
	v_add_co_u32 v34, s0, s8, v34
	v_mul_i32_i24_e32 v19, 3, v15
	s_wait_alu 0xf1ff
	v_add_co_ci_u32_e64 v35, s0, s9, v35, s0
	v_lshlrev_b32_e32 v15, 1, v15
	s_delay_alu instid0(VALU_DEP_3)
	v_lshlrev_b64_e32 v[37:38], 2, v[19:20]
	global_load_b96 v[34:36], v[34:35], off offset:120
	v_add_co_u32 v37, s0, s8, v37
	s_wait_alu 0xf1ff
	v_add_co_ci_u32_e64 v38, s0, s9, v38, s0
	s_clause 0x2
	global_load_b96 v[37:39], v[37:38], off offset:120
	global_load_b96 v[40:42], v13, s[8:9] offset:216
	global_load_b96 v[43:45], v13, s[8:9] offset:408
	ds_load_u16 v13, v21
	ds_load_u16 v17, v0
	ds_load_u16 v19, v22 offset:480
	ds_load_u16 v49, v22 offset:320
	ds_load_u16 v54, v25
	ds_load_u16 v55, v27
	ds_load_u16 v56, v30
	ds_load_u16 v60, v22 offset:352
	ds_load_u16 v61, v22 offset:384
	;; [unrolled: 1-line block ×7, first 2 shown]
	ds_load_u16 v75, v23
	ds_load_u16 v81, v26
	;; [unrolled: 1-line block ×4, first 2 shown]
	v_cmp_lt_u32_e64 s0, 39, v8
	s_wait_loadcnt 0x4
	v_lshrrev_b32_e32 v64, 16, v31
	v_lshrrev_b32_e32 v72, 16, v32
	;; [unrolled: 1-line block ×3, first 2 shown]
	s_wait_dscnt 0x11
	s_delay_alu instid0(VALU_DEP_3) | instskip(SKIP_1) | instid1(VALU_DEP_2)
	v_mul_f16_e32 v73, v13, v64
	v_mul_f16_e32 v64, v51, v64
	v_fma_f16 v51, v51, v31, -v73
	s_wait_dscnt 0xe
	v_mul_f16_e32 v73, v49, v72
	s_delay_alu instid0(VALU_DEP_3)
	v_fmac_f16_e32 v64, v13, v31
	v_mul_f16_e32 v13, v52, v72
	v_mul_f16_e32 v72, v77, v84
	;; [unrolled: 1-line block ×3, first 2 shown]
	v_fma_f16 v52, v52, v32, -v73
	s_wait_loadcnt 0x3
	v_lshrrev_b32_e32 v73, 16, v34
	v_fmac_f16_e32 v13, v49, v32
	v_fmac_f16_e32 v72, v19, v33
	v_lshrrev_b32_e32 v19, 16, v35
	v_fma_f16 v31, v77, v33, -v31
	s_wait_dscnt 0xd
	v_mul_f16_e32 v32, v54, v73
	v_mul_f16_e32 v33, v46, v73
	v_lshrrev_b32_e32 v84, 16, v36
	s_wait_dscnt 0xa
	v_mul_f16_e32 v77, v60, v19
	v_mul_f16_e32 v19, v53, v19
	v_fma_f16 v32, v46, v34, -v32
	v_fmac_f16_e32 v33, v54, v34
	s_wait_dscnt 0x7
	v_mul_f16_e32 v46, v67, v84
	v_fma_f16 v34, v53, v35, -v77
	s_wait_loadcnt 0x2
	v_lshrrev_b32_e32 v53, 16, v37
	v_mul_f16_e32 v54, v59, v84
	v_fmac_f16_e32 v19, v60, v35
	v_lshrrev_b32_e32 v35, 16, v38
	v_fma_f16 v46, v59, v36, -v46
	v_mul_f16_e32 v59, v56, v53
	v_fmac_f16_e32 v54, v67, v36
	v_mul_f16_e32 v36, v48, v53
	v_mul_f16_e32 v53, v61, v35
	v_lshrrev_b32_e32 v60, 16, v39
	v_mul_f16_e32 v35, v57, v35
	ds_load_u16 v49, v24
	ds_load_u16 v73, v22 offset:608
	v_fmac_f16_e32 v36, v56, v37
	s_wait_loadcnt 0x1
	v_lshrrev_b32_e32 v56, 16, v40
	v_fma_f16 v48, v48, v37, -v59
	v_fma_f16 v37, v57, v38, -v53
	s_wait_dscnt 0x8
	v_mul_f16_e32 v53, v68, v60
	v_fmac_f16_e32 v35, v61, v38
	v_mul_f16_e32 v38, v63, v60
	v_lshrrev_b32_e32 v57, 16, v41
	s_wait_dscnt 0x4
	v_mul_f16_e32 v59, v81, v56
	v_mul_f16_e32 v56, v71, v56
	v_fma_f16 v53, v63, v39, -v53
	v_fmac_f16_e32 v38, v68, v39
	v_mul_f16_e32 v39, v62, v57
	v_lshrrev_b32_e32 v60, 16, v42
	v_fma_f16 v59, v71, v40, -v59
	v_fmac_f16_e32 v56, v81, v40
	v_mul_f16_e32 v40, v58, v57
	v_fma_f16 v39, v58, v41, -v39
	v_mul_f16_e32 v57, v69, v60
	v_mul_f16_e32 v58, v65, v60
	s_wait_loadcnt 0x0
	v_lshrrev_b32_e32 v60, 16, v43
	v_fmac_f16_e32 v40, v62, v41
	v_lshrrev_b32_e32 v41, 16, v44
	v_fma_f16 v57, v65, v42, -v57
	v_fmac_f16_e32 v58, v69, v42
	s_wait_dscnt 0x2
	v_mul_f16_e32 v42, v83, v60
	v_mul_f16_e32 v60, v76, v60
	;; [unrolled: 1-line block ×4, first 2 shown]
	v_lshrrev_b32_e32 v62, 16, v45
	v_fma_f16 v42, v76, v43, -v42
	v_fmac_f16_e32 v60, v83, v43
	v_fma_f16 v43, v78, v44, -v61
	v_fmac_f16_e32 v41, v70, v44
	v_sub_f16_e32 v44, v50, v52
	s_wait_dscnt 0x0
	v_mul_f16_e32 v52, v73, v62
	v_mul_f16_e32 v61, v80, v62
	v_sub_f16_e32 v13, v17, v13
	v_sub_f16_e32 v62, v64, v72
	;; [unrolled: 1-line block ×3, first 2 shown]
	v_fma_f16 v52, v80, v45, -v52
	v_fmac_f16_e32 v61, v73, v45
	v_fma_f16 v17, v17, 2.0, -v13
	v_fma_f16 v45, v64, 2.0, -v62
	v_sub_f16_e32 v46, v32, v46
	v_sub_f16_e32 v31, v51, v31
	;; [unrolled: 1-line block ×5, first 2 shown]
	v_fma_f16 v45, v79, 2.0, -v34
	v_fma_f16 v32, v32, 2.0, -v46
	v_sub_f16_e32 v62, v44, v62
	v_sub_f16_e32 v35, v55, v35
	;; [unrolled: 1-line block ×3, first 2 shown]
	v_fma_f16 v50, v50, 2.0, -v44
	v_fma_f16 v51, v51, 2.0, -v31
	;; [unrolled: 1-line block ×4, first 2 shown]
	v_add_f16_e32 v64, v13, v31
	v_sub_f16_e32 v31, v45, v32
	v_fma_f16 v32, v44, 2.0, -v62
	v_sub_f16_e32 v44, v48, v53
	v_add_f16_e32 v53, v19, v46
	v_fma_f16 v46, v55, 2.0, -v35
	v_fma_f16 v36, v36, 2.0, -v38
	v_sub_f16_e32 v65, v49, v33
	v_fma_f16 v33, v45, 2.0, -v31
	v_sub_f16_e32 v45, v34, v54
	v_sub_f16_e32 v39, v66, v39
	;; [unrolled: 1-line block ×4, first 2 shown]
	v_fma_f16 v67, v49, 2.0, -v65
	v_sub_f16_e32 v55, v56, v58
	v_fma_f16 v49, v66, 2.0, -v39
	v_add_f16_e32 v58, v35, v44
	v_fma_f16 v57, v59, 2.0, -v36
	v_fma_f16 v59, v46, 2.0, -v54
	v_sub_f16_e32 v43, v74, v43
	v_sub_f16_e32 v41, v82, v41
	v_fma_f16 v66, v35, 2.0, -v58
	v_sub_f16_e32 v57, v49, v57
	v_sub_f16_e32 v46, v42, v52
	;; [unrolled: 1-line block ×3, first 2 shown]
	v_fma_f16 v56, v56, 2.0, -v55
	v_sub_f16_e32 v52, v39, v55
	v_fma_f16 v35, v49, 2.0, -v57
	v_sub_f16_e32 v49, v60, v61
	v_fma_f16 v55, v74, 2.0, -v43
	v_fma_f16 v61, v82, 2.0, -v41
	;; [unrolled: 1-line block ×3, first 2 shown]
	v_sub_f16_e32 v37, v47, v37
	v_fma_f16 v60, v60, 2.0, -v49
	v_add_f16_e32 v69, v40, v36
	v_fma_f16 v36, v39, 2.0, -v52
	v_sub_f16_e32 v39, v55, v42
	v_add_f16_e32 v70, v41, v46
	v_sub_f16_e32 v60, v61, v60
	v_fma_f16 v47, v47, 2.0, -v37
	v_fma_f16 v48, v48, 2.0, -v44
	;; [unrolled: 1-line block ×7, first 2 shown]
	s_wait_alu 0xf1ff
	v_cndmask_b32_e64 v41, 0, 0x140, s0
	v_sub_f16_e32 v51, v50, v51
	v_sub_f16_e32 v48, v47, v48
	;; [unrolled: 1-line block ×4, first 2 shown]
	v_add_nc_u32_e32 v41, 0, v41
	v_fma_f16 v50, v50, 2.0, -v51
	v_sub_f16_e32 v56, v44, v56
	v_fma_f16 v34, v34, 2.0, -v45
	v_fma_f16 v47, v47, 2.0, -v48
	;; [unrolled: 1-line block ×4, first 2 shown]
	v_add3_u32 v4, v41, v15, v4
	v_fma_f16 v68, v44, 2.0, -v56
	global_wb scope:SCOPE_SE
	s_barrier_signal -1
	s_barrier_wait -1
	global_inv scope:SCOPE_SE
	ds_store_b16 v22, v50
	ds_store_b16 v22, v32 offset:80
	ds_store_b16 v22, v51 offset:160
	ds_store_b16 v22, v62 offset:240
	ds_store_b16 v24, v33
	ds_store_b16 v24, v34 offset:80
	ds_store_b16 v24, v31 offset:160
	ds_store_b16 v24, v45 offset:240
	ds_store_b16 v4, v47
	ds_store_b16 v4, v37 offset:80
	ds_store_b16 v4, v48 offset:160
	ds_store_b16 v4, v38 offset:240
	ds_store_b16 v22, v35 offset:336
	ds_store_b16 v22, v36 offset:416
	;; [unrolled: 1-line block ×8, first 2 shown]
	global_wb scope:SCOPE_SE
	s_wait_dscnt 0x0
	s_barrier_signal -1
	s_barrier_wait -1
	global_inv scope:SCOPE_SE
	ds_load_u16 v31, v0
	ds_load_u16 v32, v23
	ds_load_u16 v41, v22 offset:352
	ds_load_u16 v42, v22 offset:384
	;; [unrolled: 1-line block ×6, first 2 shown]
	ds_load_u16 v34, v21
	ds_load_u16 v37, v30
	ds_load_u16 v33, v27
	ds_load_u16 v36, v25
	ds_load_u16 v40, v29
	ds_load_u16 v38, v28
	ds_load_u16 v39, v26
	ds_load_u16 v47, v22 offset:512
	ds_load_u16 v48, v22 offset:544
	;; [unrolled: 1-line block ×3, first 2 shown]
	ds_load_u16 v35, v24
	ds_load_u16 v50, v22 offset:608
	v_fma_f16 v17, v17, 2.0, -v63
	v_fma_f16 v13, v13, 2.0, -v64
	;; [unrolled: 1-line block ×3, first 2 shown]
	global_wb scope:SCOPE_SE
	s_wait_dscnt 0x0
	s_barrier_signal -1
	s_barrier_wait -1
	global_inv scope:SCOPE_SE
	ds_store_b16 v22, v17
	ds_store_b16 v22, v13 offset:80
	ds_store_b16 v22, v63 offset:160
	ds_store_b16 v22, v64 offset:240
	ds_store_b16 v24, v67
	ds_store_b16 v24, v19 offset:80
	ds_store_b16 v24, v65 offset:160
	ds_store_b16 v24, v53 offset:240
	ds_store_b16 v4, v59
	ds_store_b16 v4, v66 offset:80
	ds_store_b16 v4, v54 offset:160
	ds_store_b16 v4, v58 offset:240
	ds_store_b16 v22, v68 offset:336
	ds_store_b16 v22, v71 offset:416
	;; [unrolled: 1-line block ×8, first 2 shown]
	global_wb scope:SCOPE_SE
	s_wait_dscnt 0x0
	s_barrier_signal -1
	s_barrier_wait -1
	global_inv scope:SCOPE_SE
	s_and_saveexec_b32 s0, vcc_lo
	s_cbranch_execz .LBB0_15
; %bb.14:
	v_mov_b32_e32 v19, v20
	v_mov_b32_e32 v17, v20
	v_dual_mov_b32 v13, v20 :: v_dual_mov_b32 v4, v20
	v_mov_b32_e32 v15, v20
	s_delay_alu instid0(VALU_DEP_4) | instskip(NEXT) | instid1(VALU_DEP_4)
	v_lshlrev_b64_e32 v[18:19], 2, v[18:19]
	v_lshlrev_b64_e32 v[16:17], 2, v[16:17]
	s_delay_alu instid0(VALU_DEP_4)
	v_lshlrev_b64_e32 v[51:52], 2, v[12:13]
	v_mul_lo_u32 v6, s2, v6
	v_add_nc_u32_e32 v86, 0x90, v3
	v_add_co_u32 v12, vcc_lo, s8, v18
	s_wait_alu 0xfffd
	v_add_co_ci_u32_e32 v13, vcc_lo, s9, v19, vcc_lo
	v_add_co_u32 v16, vcc_lo, s8, v16
	s_wait_alu 0xfffd
	v_add_co_ci_u32_e32 v17, vcc_lo, s9, v17, vcc_lo
	s_clause 0x1
	global_load_b32 v13, v[12:13], off offset:600
	global_load_b32 v57, v[16:17], off offset:600
	v_mov_b32_e32 v12, v20
	v_add_nc_u32_e32 v16, 0x80, v3
	s_delay_alu instid0(VALU_DEP_2) | instskip(SKIP_1) | instid1(VALU_DEP_1)
	v_lshlrev_b64_e32 v[18:19], 2, v[11:12]
	v_mov_b32_e32 v11, v20
	v_lshlrev_b64_e32 v[11:12], 2, v[10:11]
	v_mov_b32_e32 v10, v20
	s_delay_alu instid0(VALU_DEP_1) | instskip(SKIP_1) | instid1(VALU_DEP_1)
	v_lshlrev_b64_e32 v[53:54], 2, v[9:10]
	v_mov_b32_e32 v9, v20
	v_lshlrev_b64_e32 v[55:56], 2, v[8:9]
	v_mov_b32_e32 v8, v20
	v_lshlrev_b64_e32 v[14:15], 2, v[14:15]
	s_delay_alu instid0(VALU_DEP_2) | instskip(NEXT) | instid1(VALU_DEP_2)
	v_lshlrev_b64_e32 v[7:8], 2, v[7:8]
	v_add_co_u32 v14, vcc_lo, s8, v14
	s_wait_alu 0xfffd
	s_delay_alu instid0(VALU_DEP_3)
	v_add_co_ci_u32_e32 v15, vcc_lo, s9, v15, vcc_lo
	v_add_co_u32 v51, vcc_lo, s8, v51
	s_wait_alu 0xfffd
	v_add_co_ci_u32_e32 v52, vcc_lo, s9, v52, vcc_lo
	v_add_co_u32 v18, vcc_lo, s8, v18
	s_wait_alu 0xfffd
	;; [unrolled: 3-line block ×5, first 2 shown]
	v_add_co_ci_u32_e32 v56, vcc_lo, s9, v56, vcc_lo
	s_clause 0x5
	global_load_b32 v58, v[14:15], off offset:600
	global_load_b32 v59, v[51:52], off offset:600
	global_load_b32 v60, v[18:19], off offset:600
	global_load_b32 v61, v[10:11], off offset:600
	global_load_b32 v62, v[53:54], off offset:600
	global_load_b32 v63, v[55:56], off offset:600
	v_lshlrev_b64_e32 v[9:10], 2, v[3:4]
	v_add_co_u32 v7, vcc_lo, s8, v7
	s_wait_alu 0xfffd
	v_add_co_ci_u32_e32 v8, vcc_lo, s9, v8, vcc_lo
	v_add_nc_u32_e32 v11, 64, v3
	s_delay_alu instid0(VALU_DEP_4)
	v_add_co_u32 v9, vcc_lo, s8, v9
	s_wait_alu 0xfffd
	v_add_co_ci_u32_e32 v10, vcc_lo, s9, v10, vcc_lo
	s_clause 0x1
	global_load_b32 v64, v[7:8], off offset:600
	global_load_b32 v65, v[9:10], off offset:600
	v_add_nc_u32_e32 v10, 48, v3
	v_mul_lo_u32 v7, s3, v5
	v_mad_co_u64_u32 v[4:5], null, s2, v5, 0
	ds_load_u16 v66, v30
	ds_load_u16 v67, v27
	;; [unrolled: 1-line block ×4, first 2 shown]
	ds_load_u16 v70, v22 offset:608
	ds_load_u16 v71, v22 offset:576
	ds_load_u16 v72, v22 offset:544
	ds_load_u16 v73, v22 offset:512
	ds_load_u16 v74, v29
	ds_load_u16 v75, v28
	;; [unrolled: 1-line block ×4, first 2 shown]
	ds_load_u16 v78, v22 offset:320
	ds_load_u16 v79, v22 offset:480
	;; [unrolled: 1-line block ×6, first 2 shown]
	ds_load_u16 v84, v21
	ds_load_u16 v85, v0
	v_lshlrev_b64_e32 v[0:1], 2, v[1:2]
	v_add_nc_u32_e32 v2, 16, v3
	v_add_nc_u32_e32 v9, 32, v3
	v_mul_hi_u32 v8, 0xcccccccd, v3
	v_add_nc_u32_e32 v15, 0x70, v3
	v_mul_hi_u32 v19, 0xcccccccd, v10
	v_mul_hi_u32 v17, 0xcccccccd, v2
	;; [unrolled: 1-line block ×3, first 2 shown]
	v_add3_u32 v5, v5, v6, v7
	v_mul_hi_u32 v21, 0xcccccccd, v11
	v_mul_hi_u32 v6, 0xcccccccd, v15
	;; [unrolled: 1-line block ×4, first 2 shown]
	v_lshrrev_b32_e32 v8, 7, v8
	v_lshlrev_b64_e32 v[4:5], 2, v[4:5]
	v_lshrrev_b32_e32 v17, 7, v17
	v_lshrrev_b32_e32 v18, 7, v18
	;; [unrolled: 1-line block ×3, first 2 shown]
	v_mul_lo_u32 v8, 0xa0, v8
	v_lshrrev_b32_e32 v21, 7, v21
	v_lshrrev_b32_e32 v25, 7, v6
	v_lshrrev_b32_e32 v87, 7, v7
	v_mul_lo_u32 v6, 0xa0, v17
	v_mul_lo_u32 v7, 0xa0, v18
	v_lshrrev_b32_e32 v88, 7, v24
	v_mul_lo_u32 v24, 0xa0, v19
	v_add_co_u32 v4, vcc_lo, s6, v4
	s_wait_alu 0xfffd
	v_add_co_ci_u32_e32 v5, vcc_lo, s7, v5, vcc_lo
	v_mul_lo_u32 v26, 0xa0, v21
	s_delay_alu instid0(VALU_DEP_3)
	v_add_co_u32 v89, vcc_lo, v4, v0
	v_add_nc_u32_e32 v12, 0x50, v3
	v_add_nc_u32_e32 v14, 0x60, v3
	v_sub_nc_u32_e32 v3, v3, v8
	s_wait_alu 0xfffd
	v_add_co_ci_u32_e32 v90, vcc_lo, v5, v1, vcc_lo
	v_sub_nc_u32_e32 v0, v2, v6
	v_sub_nc_u32_e32 v1, v9, v7
	;; [unrolled: 1-line block ×3, first 2 shown]
	v_lshlrev_b32_e32 v8, 2, v3
	v_sub_nc_u32_e32 v3, v11, v26
	v_mul_lo_u32 v29, 0xa0, v25
	v_mad_co_u64_u32 v[10:11], null, 0x140, v17, v[0:1]
	v_mad_co_u64_u32 v[0:1], null, 0x140, v18, v[1:2]
	v_mov_b32_e32 v11, v20
	v_mul_hi_u32 v22, 0xcccccccd, v12
	v_mov_b32_e32 v1, v20
	v_mul_hi_u32 v23, 0xcccccccd, v14
	v_mul_lo_u32 v30, 0xa0, v87
	v_sub_nc_u32_e32 v6, v15, v29
	v_lshrrev_b32_e32 v22, 7, v22
	s_delay_alu instid0(VALU_DEP_4) | instskip(NEXT) | instid1(VALU_DEP_2)
	v_lshrrev_b32_e32 v23, 7, v23
	v_mul_lo_u32 v27, 0xa0, v22
	s_delay_alu instid0(VALU_DEP_2) | instskip(NEXT) | instid1(VALU_DEP_2)
	v_mul_lo_u32 v28, 0xa0, v23
	v_sub_nc_u32_e32 v4, v12, v27
	v_lshlrev_b64_e32 v[11:12], 2, v[10:11]
	s_delay_alu instid0(VALU_DEP_3)
	v_sub_nc_u32_e32 v5, v14, v28
	v_mad_co_u64_u32 v[14:15], null, 0x140, v19, v[2:3]
	v_mov_b32_e32 v15, v20
	v_sub_nc_u32_e32 v7, v16, v30
	v_mad_co_u64_u32 v[2:3], null, 0x140, v21, v[3:4]
	v_add_nc_u32_e32 v19, 0xa0, v10
	v_mad_co_u64_u32 v[16:17], null, 0x140, v22, v[4:5]
	v_mov_b32_e32 v17, v20
	v_add_co_u32 v8, vcc_lo, v89, v8
	v_mad_co_u64_u32 v[4:5], null, 0x140, v23, v[5:6]
	v_lshlrev_b64_e32 v[23:24], 2, v[0:1]
	v_mad_co_u64_u32 v[21:22], null, 0x140, v25, v[6:7]
	v_mov_b32_e32 v3, v20
	s_wait_alu 0xfffd
	v_add_co_ci_u32_e32 v9, vcc_lo, 0, v90, vcc_lo
	v_lshlrev_b64_e32 v[25:26], 2, v[14:15]
	v_lshlrev_b64_e32 v[51:52], 2, v[19:20]
	v_add_nc_u32_e32 v19, 0xa0, v0
	v_add_co_u32 v0, vcc_lo, v89, v11
	v_mov_b32_e32 v22, v20
	s_wait_alu 0xfffd
	v_add_co_ci_u32_e32 v1, vcc_lo, v90, v12, vcc_lo
	v_lshlrev_b64_e32 v[27:28], 2, v[2:3]
	v_add_co_u32 v10, vcc_lo, v89, v23
	v_mov_b32_e32 v5, v20
	s_wait_alu 0xfffd
	v_add_co_ci_u32_e32 v11, vcc_lo, v90, v24, vcc_lo
	v_lshlrev_b64_e32 v[17:18], 2, v[16:17]
	v_lshlrev_b64_e32 v[29:30], 2, v[21:22]
	v_add_co_u32 v22, vcc_lo, v89, v25
	s_wait_alu 0xfffd
	v_add_co_ci_u32_e32 v23, vcc_lo, v90, v26, vcc_lo
	v_lshlrev_b64_e32 v[5:6], 2, v[4:5]
	v_add_co_u32 v24, vcc_lo, v89, v27
	s_wait_alu 0xfffd
	v_add_co_ci_u32_e32 v25, vcc_lo, v90, v28, vcc_lo
	v_add_co_u32 v17, vcc_lo, v89, v17
	s_wait_alu 0xfffd
	v_add_co_ci_u32_e32 v18, vcc_lo, v90, v18, vcc_lo
	v_add_co_u32 v5, vcc_lo, v89, v5
	v_lshlrev_b64_e32 v[26:27], 2, v[19:20]
	v_add_nc_u32_e32 v19, 0xa0, v14
	s_wait_alu 0xfffd
	v_add_co_ci_u32_e32 v6, vcc_lo, v90, v6, vcc_lo
	v_add_co_u32 v14, vcc_lo, v89, v51
	s_wait_alu 0xfffd
	v_add_co_ci_u32_e32 v15, vcc_lo, v90, v52, vcc_lo
	v_lshlrev_b64_e32 v[51:52], 2, v[19:20]
	v_add_nc_u32_e32 v19, 0xa0, v2
	v_add_co_u32 v2, vcc_lo, v89, v26
	s_wait_alu 0xfffd
	v_add_co_ci_u32_e32 v3, vcc_lo, v90, v27, vcc_lo
	s_delay_alu instid0(VALU_DEP_3) | instskip(SKIP_4) | instid1(VALU_DEP_3)
	v_lshlrev_b64_e32 v[26:27], 2, v[19:20]
	v_add_nc_u32_e32 v19, 0xa0, v16
	v_add_co_u32 v51, vcc_lo, v89, v51
	s_wait_alu 0xfffd
	v_add_co_ci_u32_e32 v52, vcc_lo, v90, v52, vcc_lo
	v_lshlrev_b64_e32 v[53:54], 2, v[19:20]
	v_add_nc_u32_e32 v19, 0xa0, v4
	v_add_co_u32 v26, vcc_lo, v89, v26
	s_wait_alu 0xfffd
	v_add_co_ci_u32_e32 v27, vcc_lo, v90, v27, vcc_lo
	s_delay_alu instid0(VALU_DEP_3) | instskip(SKIP_4) | instid1(VALU_DEP_4)
	v_lshlrev_b64_e32 v[55:56], 2, v[19:20]
	v_add_nc_u32_e32 v19, 0xa0, v21
	v_add_co_u32 v53, vcc_lo, v89, v53
	s_wait_alu 0xfffd
	v_add_co_ci_u32_e32 v54, vcc_lo, v90, v54, vcc_lo
	v_add_co_u32 v55, vcc_lo, v89, v55
	s_wait_alu 0xfffd
	v_add_co_ci_u32_e32 v56, vcc_lo, v90, v56, vcc_lo
	s_wait_loadcnt 0x9
	v_lshrrev_b32_e32 v4, 16, v13
	s_wait_loadcnt 0x8
	v_lshrrev_b32_e32 v16, 16, v57
	s_wait_dscnt 0xf
	s_delay_alu instid0(VALU_DEP_2) | instskip(SKIP_1) | instid1(VALU_DEP_2)
	v_mul_f16_e32 v12, v70, v4
	v_mul_f16_e32 v4, v50, v4
	v_fma_f16 v12, v50, v13, -v12
	s_wait_dscnt 0xe
	v_mul_f16_e32 v50, v71, v16
	v_mul_f16_e32 v16, v49, v16
	v_fmac_f16_e32 v4, v13, v70
	v_sub_f16_e32 v12, v40, v12
	s_delay_alu instid0(VALU_DEP_4) | instskip(NEXT) | instid1(VALU_DEP_4)
	v_fma_f16 v49, v49, v57, -v50
	v_fmac_f16_e32 v16, v57, v71
	s_delay_alu instid0(VALU_DEP_3) | instskip(NEXT) | instid1(VALU_DEP_3)
	v_fma_f16 v40, v40, 2.0, -v12
	v_sub_f16_e32 v49, v39, v49
	s_wait_dscnt 0x9
	s_delay_alu instid0(VALU_DEP_3) | instskip(NEXT) | instid1(VALU_DEP_2)
	v_sub_f16_e32 v16, v76, v16
	v_fma_f16 v39, v39, 2.0, -v49
	s_wait_loadcnt 0x7
	v_lshrrev_b32_e32 v21, 16, v58
	s_wait_loadcnt 0x6
	v_lshrrev_b32_e32 v28, 16, v59
	;; [unrolled: 2-line block ×5, first 2 shown]
	v_mul_f16_e32 v50, v72, v21
	v_mul_f16_e32 v21, v48, v21
	s_wait_loadcnt 0x2
	v_lshrrev_b32_e32 v71, 16, v63
	s_delay_alu instid0(VALU_DEP_3) | instskip(SKIP_3) | instid1(VALU_DEP_4)
	v_fma_f16 v48, v48, v58, -v50
	v_mul_f16_e32 v50, v73, v28
	v_fmac_f16_e32 v21, v58, v72
	v_mul_f16_e32 v28, v47, v28
	v_sub_f16_e32 v48, v37, v48
	s_delay_alu instid0(VALU_DEP_4)
	v_fma_f16 v47, v47, v59, -v50
	s_wait_dscnt 0x6
	v_mul_f16_e32 v50, v79, v13
	s_wait_loadcnt 0x0
	v_lshrrev_b32_e32 v72, 16, v65
	v_mul_f16_e32 v13, v46, v13
	v_lshrrev_b32_e32 v58, 16, v64
	v_fmac_f16_e32 v28, v59, v73
	v_fma_f16 v46, v46, v60, -v50
	s_wait_dscnt 0x3
	v_mul_f16_e32 v50, v82, v71
	v_fmac_f16_e32 v13, v60, v79
	v_mul_f16_e32 v79, v78, v72
	v_mul_f16_e32 v72, v43, v72
	s_wait_dscnt 0x2
	v_mul_f16_e32 v60, v83, v58
	v_mul_f16_e32 v58, v41, v58
	;; [unrolled: 1-line block ×7, first 2 shown]
	v_fma_f16 v43, v43, v65, -v79
	v_fmac_f16_e32 v72, v65, v78
	v_fma_f16 v41, v41, v64, -v60
	v_fmac_f16_e32 v58, v64, v83
	v_fma_f16 v42, v42, v63, -v50
	v_fmac_f16_e32 v71, v63, v82
	v_fma_f16 v45, v45, v61, -v59
	v_fmac_f16_e32 v70, v61, v80
	v_fma_f16 v44, v44, v62, -v73
	v_fmac_f16_e32 v57, v62, v81
	v_sub_f16_e32 v43, v31, v43
	s_wait_dscnt 0x0
	v_sub_f16_e32 v60, v85, v72
	v_sub_f16_e32 v41, v35, v41
	;; [unrolled: 1-line block ×15, first 2 shown]
	v_fma_f16 v31, v31, 2.0, -v43
	v_fma_f16 v70, v85, 2.0, -v60
	;; [unrolled: 1-line block ×15, first 2 shown]
	v_pack_b32_f16 v4, v4, v28
	v_pack_b32_f16 v28, v31, v70
	;; [unrolled: 1-line block ×14, first 2 shown]
	s_clause 0xd
	global_store_b32 v[8:9], v28, off
	global_store_b32 v[8:9], v43, off offset:640
	global_store_b32 v[0:1], v31, off
	global_store_b32 v[14:15], v41, off
	;; [unrolled: 1-line block ×12, first 2 shown]
	v_mul_lo_u32 v6, 0xa0, v88
	v_mad_co_u64_u32 v[4:5], null, 0x140, v87, v[7:8]
	v_mov_b32_e32 v5, v20
	v_lshlrev_b64_e32 v[2:3], 2, v[19:20]
	v_add_co_u32 v0, vcc_lo, v89, v29
	s_wait_alu 0xfffd
	v_add_co_ci_u32_e32 v1, vcc_lo, v90, v30, vcc_lo
	v_sub_nc_u32_e32 v6, v86, v6
	v_add_nc_u32_e32 v19, 0xa0, v4
	v_lshlrev_b64_e32 v[4:5], 2, v[4:5]
	v_add_co_u32 v2, vcc_lo, v89, v2
	s_delay_alu instid0(VALU_DEP_4) | instskip(NEXT) | instid1(VALU_DEP_4)
	v_mad_co_u64_u32 v[6:7], null, 0x140, v88, v[6:7]
	v_lshlrev_b64_e32 v[8:9], 2, v[19:20]
	v_mov_b32_e32 v7, v20
	s_wait_alu 0xfffd
	v_add_co_ci_u32_e32 v3, vcc_lo, v90, v3, vcc_lo
	v_add_co_u32 v4, vcc_lo, v89, v4
	v_add_nc_u32_e32 v19, 0xa0, v6
	s_wait_alu 0xfffd
	v_add_co_ci_u32_e32 v5, vcc_lo, v90, v5, vcc_lo
	v_lshlrev_b64_e32 v[10:11], 2, v[6:7]
	v_fma_f16 v37, v37, 2.0, -v48
	v_add_co_u32 v6, vcc_lo, v89, v8
	v_fma_f16 v62, v76, 2.0, -v16
	s_wait_alu 0xfffd
	v_add_co_ci_u32_e32 v7, vcc_lo, v90, v9, vcc_lo
	v_lshlrev_b64_e32 v[8:9], 2, v[19:20]
	v_fma_f16 v61, v74, 2.0, -v50
	v_pack_b32_f16 v13, v37, v63
	v_add_co_u32 v10, vcc_lo, v89, v10
	v_pack_b32_f16 v14, v48, v21
	v_pack_b32_f16 v15, v39, v62
	s_wait_alu 0xfffd
	v_add_co_ci_u32_e32 v11, vcc_lo, v90, v11, vcc_lo
	v_pack_b32_f16 v16, v49, v16
	v_add_co_u32 v8, vcc_lo, v89, v8
	v_pack_b32_f16 v17, v40, v61
	s_wait_alu 0xfffd
	v_add_co_ci_u32_e32 v9, vcc_lo, v90, v9, vcc_lo
	v_pack_b32_f16 v12, v12, v50
	s_clause 0x5
	global_store_b32 v[0:1], v13, off
	global_store_b32 v[2:3], v14, off
	;; [unrolled: 1-line block ×6, first 2 shown]
.LBB0_15:
	s_nop 0
	s_sendmsg sendmsg(MSG_DEALLOC_VGPRS)
	s_endpgm
	.section	.rodata,"a",@progbits
	.p2align	6, 0x0
	.amdhsa_kernel fft_rtc_fwd_len320_factors_10_4_4_2_wgs_64_tpt_16_halfLds_half_op_CI_CI_unitstride_sbrr_dirReg
		.amdhsa_group_segment_fixed_size 0
		.amdhsa_private_segment_fixed_size 0
		.amdhsa_kernarg_size 104
		.amdhsa_user_sgpr_count 2
		.amdhsa_user_sgpr_dispatch_ptr 0
		.amdhsa_user_sgpr_queue_ptr 0
		.amdhsa_user_sgpr_kernarg_segment_ptr 1
		.amdhsa_user_sgpr_dispatch_id 0
		.amdhsa_user_sgpr_private_segment_size 0
		.amdhsa_wavefront_size32 1
		.amdhsa_uses_dynamic_stack 0
		.amdhsa_enable_private_segment 0
		.amdhsa_system_sgpr_workgroup_id_x 1
		.amdhsa_system_sgpr_workgroup_id_y 0
		.amdhsa_system_sgpr_workgroup_id_z 0
		.amdhsa_system_sgpr_workgroup_info 0
		.amdhsa_system_vgpr_workitem_id 0
		.amdhsa_next_free_vgpr 91
		.amdhsa_next_free_sgpr 39
		.amdhsa_reserve_vcc 1
		.amdhsa_float_round_mode_32 0
		.amdhsa_float_round_mode_16_64 0
		.amdhsa_float_denorm_mode_32 3
		.amdhsa_float_denorm_mode_16_64 3
		.amdhsa_fp16_overflow 0
		.amdhsa_workgroup_processor_mode 1
		.amdhsa_memory_ordered 1
		.amdhsa_forward_progress 0
		.amdhsa_round_robin_scheduling 0
		.amdhsa_exception_fp_ieee_invalid_op 0
		.amdhsa_exception_fp_denorm_src 0
		.amdhsa_exception_fp_ieee_div_zero 0
		.amdhsa_exception_fp_ieee_overflow 0
		.amdhsa_exception_fp_ieee_underflow 0
		.amdhsa_exception_fp_ieee_inexact 0
		.amdhsa_exception_int_div_zero 0
	.end_amdhsa_kernel
	.text
.Lfunc_end0:
	.size	fft_rtc_fwd_len320_factors_10_4_4_2_wgs_64_tpt_16_halfLds_half_op_CI_CI_unitstride_sbrr_dirReg, .Lfunc_end0-fft_rtc_fwd_len320_factors_10_4_4_2_wgs_64_tpt_16_halfLds_half_op_CI_CI_unitstride_sbrr_dirReg
                                        ; -- End function
	.section	.AMDGPU.csdata,"",@progbits
; Kernel info:
; codeLenInByte = 11160
; NumSgprs: 41
; NumVgprs: 91
; ScratchSize: 0
; MemoryBound: 0
; FloatMode: 240
; IeeeMode: 1
; LDSByteSize: 0 bytes/workgroup (compile time only)
; SGPRBlocks: 5
; VGPRBlocks: 11
; NumSGPRsForWavesPerEU: 41
; NumVGPRsForWavesPerEU: 91
; Occupancy: 16
; WaveLimiterHint : 1
; COMPUTE_PGM_RSRC2:SCRATCH_EN: 0
; COMPUTE_PGM_RSRC2:USER_SGPR: 2
; COMPUTE_PGM_RSRC2:TRAP_HANDLER: 0
; COMPUTE_PGM_RSRC2:TGID_X_EN: 1
; COMPUTE_PGM_RSRC2:TGID_Y_EN: 0
; COMPUTE_PGM_RSRC2:TGID_Z_EN: 0
; COMPUTE_PGM_RSRC2:TIDIG_COMP_CNT: 0
	.text
	.p2alignl 7, 3214868480
	.fill 96, 4, 3214868480
	.type	__hip_cuid_f75dd3c91d01a8be,@object ; @__hip_cuid_f75dd3c91d01a8be
	.section	.bss,"aw",@nobits
	.globl	__hip_cuid_f75dd3c91d01a8be
__hip_cuid_f75dd3c91d01a8be:
	.byte	0                               ; 0x0
	.size	__hip_cuid_f75dd3c91d01a8be, 1

	.ident	"AMD clang version 19.0.0git (https://github.com/RadeonOpenCompute/llvm-project roc-6.4.0 25133 c7fe45cf4b819c5991fe208aaa96edf142730f1d)"
	.section	".note.GNU-stack","",@progbits
	.addrsig
	.addrsig_sym __hip_cuid_f75dd3c91d01a8be
	.amdgpu_metadata
---
amdhsa.kernels:
  - .args:
      - .actual_access:  read_only
        .address_space:  global
        .offset:         0
        .size:           8
        .value_kind:     global_buffer
      - .offset:         8
        .size:           8
        .value_kind:     by_value
      - .actual_access:  read_only
        .address_space:  global
        .offset:         16
        .size:           8
        .value_kind:     global_buffer
      - .actual_access:  read_only
        .address_space:  global
        .offset:         24
        .size:           8
        .value_kind:     global_buffer
      - .actual_access:  read_only
        .address_space:  global
        .offset:         32
        .size:           8
        .value_kind:     global_buffer
      - .offset:         40
        .size:           8
        .value_kind:     by_value
      - .actual_access:  read_only
        .address_space:  global
        .offset:         48
        .size:           8
        .value_kind:     global_buffer
      - .actual_access:  read_only
        .address_space:  global
        .offset:         56
        .size:           8
        .value_kind:     global_buffer
      - .offset:         64
        .size:           4
        .value_kind:     by_value
      - .actual_access:  read_only
        .address_space:  global
        .offset:         72
        .size:           8
        .value_kind:     global_buffer
      - .actual_access:  read_only
        .address_space:  global
        .offset:         80
        .size:           8
        .value_kind:     global_buffer
      - .actual_access:  read_only
        .address_space:  global
        .offset:         88
        .size:           8
        .value_kind:     global_buffer
      - .actual_access:  write_only
        .address_space:  global
        .offset:         96
        .size:           8
        .value_kind:     global_buffer
    .group_segment_fixed_size: 0
    .kernarg_segment_align: 8
    .kernarg_segment_size: 104
    .language:       OpenCL C
    .language_version:
      - 2
      - 0
    .max_flat_workgroup_size: 64
    .name:           fft_rtc_fwd_len320_factors_10_4_4_2_wgs_64_tpt_16_halfLds_half_op_CI_CI_unitstride_sbrr_dirReg
    .private_segment_fixed_size: 0
    .sgpr_count:     41
    .sgpr_spill_count: 0
    .symbol:         fft_rtc_fwd_len320_factors_10_4_4_2_wgs_64_tpt_16_halfLds_half_op_CI_CI_unitstride_sbrr_dirReg.kd
    .uniform_work_group_size: 1
    .uses_dynamic_stack: false
    .vgpr_count:     91
    .vgpr_spill_count: 0
    .wavefront_size: 32
    .workgroup_processor_mode: 1
amdhsa.target:   amdgcn-amd-amdhsa--gfx1201
amdhsa.version:
  - 1
  - 2
...

	.end_amdgpu_metadata
